;; amdgpu-corpus repo=ROCm/rocFFT kind=compiled arch=gfx1030 opt=O3
	.text
	.amdgcn_target "amdgcn-amd-amdhsa--gfx1030"
	.amdhsa_code_object_version 6
	.protected	bluestein_single_back_len2160_dim1_half_op_CI_CI ; -- Begin function bluestein_single_back_len2160_dim1_half_op_CI_CI
	.globl	bluestein_single_back_len2160_dim1_half_op_CI_CI
	.p2align	8
	.type	bluestein_single_back_len2160_dim1_half_op_CI_CI,@function
bluestein_single_back_len2160_dim1_half_op_CI_CI: ; @bluestein_single_back_len2160_dim1_half_op_CI_CI
; %bb.0:
	s_load_dwordx4 s[12:15], s[4:5], 0x28
	v_mul_u32_u24_e32 v1, 0x445, v0
	v_mov_b32_e32 v79, 0
	s_mov_b32 s0, exec_lo
	v_lshrrev_b32_e32 v1, 16, v1
	v_add_nc_u32_e32 v78, s6, v1
	s_waitcnt lgkmcnt(0)
	v_cmpx_gt_u64_e64 s[12:13], v[78:79]
	s_cbranch_execz .LBB0_15
; %bb.1:
	s_clause 0x1
	s_load_dwordx4 s[0:3], s[4:5], 0x18
	s_load_dwordx2 s[12:13], s[4:5], 0x0
	v_mul_lo_u16 v1, v1, 60
	v_sub_nc_u16 v2, v0, v1
	v_and_b32_e32 v147, 0xffff, v2
	v_or_b32_e32 v139, 0x6c0, v147
	v_or_b32_e32 v124, 0x300, v147
	v_lshlrev_b32_e32 v119, 2, v147
	s_waitcnt lgkmcnt(0)
	s_load_dwordx4 s[8:11], s[0:1], 0x0
	s_clause 0x2
	global_load_dword v152, v119, s[12:13]
	global_load_dword v151, v119, s[12:13] offset:864
	global_load_dword v150, v119, s[12:13] offset:1728
	v_add_co_u32 v76, s0, s12, v119
	v_add_co_ci_u32_e64 v77, null, s13, 0, s0
	v_lshlrev_b32_e32 v97, 2, v139
	v_add_co_u32 v74, vcc_lo, 0x800, v76
	v_add_co_ci_u32_e32 v75, vcc_lo, 0, v77, vcc_lo
	v_lshlrev_b32_e32 v98, 2, v124
	s_clause 0x1
	global_load_dword v143, v97, s[12:13]
	global_load_dword v127, v98, s[12:13]
	v_add_nc_u32_e32 v39, 0x600, v119
	s_waitcnt lgkmcnt(0)
	v_mad_u64_u32 v[0:1], null, s10, v78, 0
	v_mad_u64_u32 v[3:4], null, s8, v147, 0
	;; [unrolled: 1-line block ×5, first 2 shown]
	s_mul_i32 s1, s9, 0xd8
	s_mul_hi_u32 s6, s8, 0xd8
	v_mad_u64_u32 v[10:11], null, s9, v147, v[4:5]
	v_mad_u64_u32 v[11:12], null, s9, v139, v[6:7]
	v_mov_b32_e32 v1, v9
	v_mad_u64_u32 v[12:13], null, s9, v124, v[8:9]
	s_mul_i32 s0, s8, 0xd8
	v_mov_b32_e32 v4, v10
	v_lshlrev_b64 v[0:1], 2, v[0:1]
	v_mov_b32_e32 v6, v11
	s_add_i32 s1, s6, s1
	s_mul_i32 s6, s9, 0x6c0
	v_lshlrev_b64 v[3:4], 2, v[3:4]
	v_mov_b32_e32 v8, v12
	v_add_co_u32 v9, vcc_lo, s14, v0
	v_lshlrev_b64 v[5:6], 2, v[5:6]
	v_add_co_ci_u32_e32 v10, vcc_lo, s15, v1, vcc_lo
	v_lshlrev_b64 v[0:1], 2, v[7:8]
	v_add_co_u32 v3, vcc_lo, v9, v3
	v_add_co_ci_u32_e32 v4, vcc_lo, v10, v4, vcc_lo
	v_add_co_u32 v5, vcc_lo, v9, v5
	v_add_co_ci_u32_e32 v6, vcc_lo, v10, v6, vcc_lo
	v_add_co_u32 v0, vcc_lo, v9, v0
	s_lshl_b64 s[16:17], s[0:1], 2
	v_add_co_ci_u32_e32 v1, vcc_lo, v10, v1, vcc_lo
	global_load_dword v9, v[3:4], off
	v_add_co_u32 v3, vcc_lo, v3, s16
	v_add_co_ci_u32_e32 v4, vcc_lo, s17, v4, vcc_lo
	s_clause 0x1
	global_load_dword v10, v[5:6], off
	global_load_dword v11, v[0:1], off
	v_add_co_u32 v0, vcc_lo, v3, s16
	v_add_co_ci_u32_e32 v1, vcc_lo, s17, v4, vcc_lo
	global_load_dword v12, v[3:4], off
	v_add_co_u32 v3, vcc_lo, v0, s16
	v_add_co_ci_u32_e32 v4, vcc_lo, s17, v1, vcc_lo
	v_add_co_u32 v72, vcc_lo, 0x1000, v76
	v_add_co_ci_u32_e32 v73, vcc_lo, 0, v77, vcc_lo
	global_load_dword v13, v[0:1], off
	global_load_dword v149, v[74:75], off offset:544
	global_load_dword v14, v[3:4], off
	v_add_co_u32 v0, vcc_lo, v3, s16
	v_add_co_ci_u32_e32 v1, vcc_lo, s17, v4, vcc_lo
	v_add_co_u32 v68, vcc_lo, 0x1800, v76
	v_add_co_ci_u32_e32 v69, vcc_lo, 0, v77, vcc_lo
	s_clause 0x1
	global_load_dword v148, v[74:75], off offset:1408
	global_load_dword v146, v[72:73], off offset:224
	global_load_dword v15, v[0:1], off
	v_add_co_u32 v0, vcc_lo, v0, s16
	v_add_co_ci_u32_e32 v1, vcc_lo, s17, v1, vcc_lo
	global_load_dword v145, v[72:73], off offset:1088
	v_add_co_u32 v3, vcc_lo, v0, s16
	v_add_co_ci_u32_e32 v4, vcc_lo, s17, v1, vcc_lo
	global_load_dword v16, v[0:1], off
	v_add_co_u32 v0, vcc_lo, v3, s16
	v_add_co_ci_u32_e32 v1, vcc_lo, s17, v4, vcc_lo
	s_clause 0x1
	global_load_dword v144, v[72:73], off offset:1952
	global_load_dword v142, v[68:69], off offset:1632
	global_load_dword v17, v[3:4], off
	s_mul_hi_u32 s0, s8, 0xfffff8a4
	s_mul_i32 s1, s9, 0xfffff8a4
	v_mad_u64_u32 v[3:4], null, 0x6c0, s8, v[0:1]
	s_sub_i32 s7, s0, s8
	s_mul_i32 s0, s8, 0xfffff8a4
	s_add_i32 s1, s7, s1
	global_load_dword v18, v[0:1], off
	s_lshl_b64 s[0:1], s[0:1], 2
	v_add_nc_u32_e32 v8, 0xc00, v119
	v_add_nc_u32_e32 v4, s6, v4
	v_add_co_u32 v0, vcc_lo, v3, s0
	v_add_nc_u32_e32 v7, 0x1400, v119
	v_add_nc_u32_e32 v40, 0x1a00, v119
	v_add_co_ci_u32_e32 v1, vcc_lo, s1, v4, vcc_lo
	global_load_dword v19, v[3:4], off
	v_add_co_u32 v3, vcc_lo, v0, s16
	v_add_co_ci_u32_e32 v4, vcc_lo, s17, v1, vcc_lo
	s_clause 0x1
	global_load_dword v141, v119, s[12:13] offset:240
	global_load_dword v140, v119, s[12:13] offset:1104
	global_load_dword v20, v[0:1], off
	global_load_dword v138, v119, s[12:13] offset:1968
	global_load_dword v21, v[3:4], off
	v_add_co_u32 v0, vcc_lo, v3, s16
	v_add_co_ci_u32_e32 v1, vcc_lo, s17, v4, vcc_lo
	global_load_dword v129, v119, s[12:13] offset:1344
	v_add_co_u32 v3, vcc_lo, v0, s16
	v_add_co_ci_u32_e32 v4, vcc_lo, s17, v1, vcc_lo
	global_load_dword v136, v[74:75], off offset:1648
	global_load_dword v22, v[0:1], off
	s_clause 0x1
	global_load_dword v135, v[72:73], off offset:464
	global_load_dword v126, v[74:75], off offset:1888
	global_load_dword v23, v[3:4], off
	v_add_co_u32 v0, vcc_lo, v3, s16
	v_add_co_ci_u32_e32 v1, vcc_lo, s17, v4, vcc_lo
	global_load_dword v137, v[74:75], off offset:784
	v_add_co_u32 v3, vcc_lo, v0, s16
	v_add_co_ci_u32_e32 v4, vcc_lo, s17, v1, vcc_lo
	global_load_dword v24, v[0:1], off
	v_add_co_u32 v0, vcc_lo, v3, s16
	v_add_co_ci_u32_e32 v1, vcc_lo, s17, v4, vcc_lo
	global_load_dword v134, v[72:73], off offset:1328
	global_load_dword v25, v[3:4], off
	s_clause 0x1
	global_load_dword v133, v[68:69], off offset:144
	global_load_dword v132, v[68:69], off offset:1008
	global_load_dword v26, v[0:1], off
	v_add_co_u32 v0, vcc_lo, v0, s16
	v_add_co_ci_u32_e32 v1, vcc_lo, s17, v1, vcc_lo
	global_load_dword v131, v[68:69], off offset:1872
	v_add_co_u32 v3, vcc_lo, v0, s16
	v_add_co_ci_u32_e32 v4, vcc_lo, s17, v1, vcc_lo
	global_load_dword v27, v[0:1], off
	v_add_co_u32 v0, vcc_lo, v3, s16
	v_add_co_ci_u32_e32 v1, vcc_lo, s17, v4, vcc_lo
	global_load_dword v28, v[3:4], off
	;; [unrolled: 3-line block ×4, first 2 shown]
	v_add_co_u32 v3, vcc_lo, v0, s16
	v_add_co_ci_u32_e32 v4, vcc_lo, s17, v1, vcc_lo
	global_load_dword v130, v119, s[12:13] offset:480
	global_load_dword v31, v[0:1], off
	global_load_dword v32, v[3:4], off
	s_clause 0x2
	global_load_dword v128, v[74:75], off offset:160
	global_load_dword v122, v[68:69], off offset:384
	;; [unrolled: 1-line block ×3, first 2 shown]
	v_mad_u64_u32 v[0:1], null, 0x6c0, s8, v[3:4]
	global_load_dword v125, v[72:73], off offset:704
	v_add_nc_u32_e32 v1, s6, v1
	v_add_co_u32 v3, vcc_lo, v0, s16
	v_add_co_ci_u32_e32 v4, vcc_lo, s17, v1, vcc_lo
	global_load_dword v33, v[0:1], off
	v_add_co_u32 v0, vcc_lo, v3, s16
	v_add_co_ci_u32_e32 v1, vcc_lo, s17, v4, vcc_lo
	global_load_dword v34, v[3:4], off
	;; [unrolled: 3-line block ×4, first 2 shown]
	v_add_co_u32 v0, vcc_lo, v5, s16
	v_add_co_ci_u32_e32 v1, vcc_lo, s17, v6, vcc_lo
	v_add_co_u32 v70, vcc_lo, 0x2000, v76
	v_add_co_ci_u32_e32 v71, vcc_lo, 0, v77, vcc_lo
	global_load_dword v37, v[5:6], off
	global_load_dword v38, v[0:1], off
	s_clause 0x1
	global_load_dword v120, v[70:71], off offset:64
	global_load_dword v121, v[68:69], off offset:1248
	s_load_dwordx2 s[6:7], s[4:5], 0x38
	s_load_dwordx4 s[8:11], s[2:3], 0x0
	v_add_nc_u32_e32 v6, 0xa00, v119
	v_add_nc_u32_e32 v4, 0x400, v119
	v_add_nc_u32_e32 v5, 0x1000, v119
	v_add_nc_u32_e32 v3, 0x1800, v119
	v_cmp_gt_u16_e32 vcc_lo, 36, v2
	s_waitcnt vmcnt(54)
	v_lshrrev_b32_e32 v41, 16, v9
	v_mul_f16_sdwa v42, v152, v9 dst_sel:DWORD dst_unused:UNUSED_PAD src0_sel:WORD_1 src1_sel:DWORD
	s_waitcnt vmcnt(53)
	v_lshrrev_b32_e32 v43, 16, v10
	v_mul_f16_sdwa v44, v143, v10 dst_sel:DWORD dst_unused:UNUSED_PAD src0_sel:WORD_1 src1_sel:DWORD
	;; [unrolled: 3-line block ×3, first 2 shown]
	v_mul_f16_sdwa v47, v152, v41 dst_sel:DWORD dst_unused:UNUSED_PAD src0_sel:WORD_1 src1_sel:DWORD
	v_fma_f16 v41, v152, v41, -v42
	s_waitcnt vmcnt(51)
	v_lshrrev_b32_e32 v42, 16, v12
	v_mul_f16_sdwa v48, v151, v12 dst_sel:DWORD dst_unused:UNUSED_PAD src0_sel:WORD_1 src1_sel:DWORD
	v_mul_f16_sdwa v49, v143, v43 dst_sel:DWORD dst_unused:UNUSED_PAD src0_sel:WORD_1 src1_sel:DWORD
	v_fma_f16 v43, v143, v43, -v44
	v_mul_f16_sdwa v44, v127, v45 dst_sel:DWORD dst_unused:UNUSED_PAD src0_sel:WORD_1 src1_sel:DWORD
	v_fma_f16 v45, v127, v45, -v46
	v_fmac_f16_e32 v47, v152, v9
	v_mul_f16_sdwa v9, v151, v42 dst_sel:DWORD dst_unused:UNUSED_PAD src0_sel:WORD_1 src1_sel:DWORD
	s_waitcnt vmcnt(50)
	v_lshrrev_b32_e32 v46, 16, v13
	v_fma_f16 v42, v151, v42, -v48
	v_mul_f16_sdwa v48, v150, v13 dst_sel:DWORD dst_unused:UNUSED_PAD src0_sel:WORD_1 src1_sel:DWORD
	v_fmac_f16_e32 v49, v143, v10
	v_fmac_f16_e32 v44, v127, v11
	v_pack_b32_f16 v10, v47, v41
	v_fmac_f16_e32 v9, v151, v12
	v_mul_f16_sdwa v11, v150, v46 dst_sel:DWORD dst_unused:UNUSED_PAD src0_sel:WORD_1 src1_sel:DWORD
	s_waitcnt vmcnt(48)
	v_lshrrev_b32_e32 v41, 16, v14
	v_fma_f16 v12, v150, v46, -v48
	v_mul_f16_sdwa v46, v149, v14 dst_sel:DWORD dst_unused:UNUSED_PAD src0_sel:WORD_1 src1_sel:DWORD
	v_pack_b32_f16 v43, v49, v43
	v_pack_b32_f16 v9, v9, v42
	v_fmac_f16_e32 v11, v150, v13
	v_mul_f16_sdwa v13, v149, v41 dst_sel:DWORD dst_unused:UNUSED_PAD src0_sel:WORD_1 src1_sel:DWORD
	s_waitcnt vmcnt(45)
	v_lshrrev_b32_e32 v42, 16, v15
	v_pack_b32_f16 v44, v44, v45
	v_fma_f16 v41, v149, v41, -v46
	v_mul_f16_sdwa v45, v148, v15 dst_sel:DWORD dst_unused:UNUSED_PAD src0_sel:WORD_1 src1_sel:DWORD
	ds_write_b32 v119, v43 offset:6912
	ds_write_b32 v119, v9 offset:864
	v_pack_b32_f16 v9, v11, v12
	v_fmac_f16_e32 v13, v149, v14
	v_mul_f16_sdwa v11, v148, v42 dst_sel:DWORD dst_unused:UNUSED_PAD src0_sel:WORD_1 src1_sel:DWORD
	v_fma_f16 v12, v148, v42, -v45
	s_waitcnt vmcnt(43)
	v_lshrrev_b32_e32 v14, 16, v16
	ds_write_b32 v119, v9 offset:1728
	v_pack_b32_f16 v9, v13, v41
	v_fmac_f16_e32 v11, v148, v15
	s_waitcnt vmcnt(40)
	v_lshrrev_b32_e32 v15, 16, v17
	v_mul_f16_sdwa v42, v146, v16 dst_sel:DWORD dst_unused:UNUSED_PAD src0_sel:WORD_1 src1_sel:DWORD
	v_mul_f16_sdwa v13, v146, v14 dst_sel:DWORD dst_unused:UNUSED_PAD src0_sel:WORD_1 src1_sel:DWORD
	;; [unrolled: 1-line block ×3, first 2 shown]
	ds_write_b32 v119, v9 offset:2592
	v_pack_b32_f16 v9, v11, v12
	v_mul_f16_sdwa v11, v145, v15 dst_sel:DWORD dst_unused:UNUSED_PAD src0_sel:WORD_1 src1_sel:DWORD
	s_waitcnt vmcnt(39)
	v_lshrrev_b32_e32 v12, 16, v18
	v_fma_f16 v14, v146, v14, -v42
	v_fmac_f16_e32 v13, v146, v16
	v_fma_f16 v15, v145, v15, -v41
	v_mul_f16_sdwa v16, v144, v18 dst_sel:DWORD dst_unused:UNUSED_PAD src0_sel:WORD_1 src1_sel:DWORD
	v_fmac_f16_e32 v11, v145, v17
	v_mul_f16_sdwa v17, v144, v12 dst_sel:DWORD dst_unused:UNUSED_PAD src0_sel:WORD_1 src1_sel:DWORD
	ds_write_b32 v119, v9 offset:3456
	v_pack_b32_f16 v9, v13, v14
	v_fma_f16 v12, v144, v12, -v16
	v_pack_b32_f16 v11, v11, v15
	v_fmac_f16_e32 v17, v144, v18
	s_waitcnt vmcnt(38)
	v_lshrrev_b32_e32 v13, 16, v19
	ds_write_b32 v119, v9 offset:4320
	v_mul_f16_sdwa v9, v142, v19 dst_sel:DWORD dst_unused:UNUSED_PAD src0_sel:WORD_1 src1_sel:DWORD
	ds_write_b32 v119, v11 offset:5184
	v_pack_b32_f16 v11, v17, v12
	v_mul_f16_sdwa v12, v142, v13 dst_sel:DWORD dst_unused:UNUSED_PAD src0_sel:WORD_1 src1_sel:DWORD
	s_waitcnt vmcnt(35)
	v_lshrrev_b32_e32 v14, 16, v20
	v_fma_f16 v9, v142, v13, -v9
	v_mul_f16_sdwa v13, v141, v20 dst_sel:DWORD dst_unused:UNUSED_PAD src0_sel:WORD_1 src1_sel:DWORD
	ds_write_b32 v119, v11 offset:6048
	v_fmac_f16_e32 v12, v142, v19
	v_mul_f16_sdwa v11, v141, v14 dst_sel:DWORD dst_unused:UNUSED_PAD src0_sel:WORD_1 src1_sel:DWORD
	s_waitcnt vmcnt(33)
	v_lshrrev_b32_e32 v15, 16, v21
	v_mul_f16_sdwa v16, v140, v21 dst_sel:DWORD dst_unused:UNUSED_PAD src0_sel:WORD_1 src1_sel:DWORD
	v_fma_f16 v13, v141, v14, -v13
	v_pack_b32_f16 v9, v12, v9
	v_fmac_f16_e32 v11, v141, v20
	v_mul_f16_sdwa v12, v140, v15 dst_sel:DWORD dst_unused:UNUSED_PAD src0_sel:WORD_1 src1_sel:DWORD
	v_fma_f16 v14, v140, v15, -v16
	s_waitcnt vmcnt(30)
	v_lshrrev_b32_e32 v15, 16, v22
	v_mul_f16_sdwa v16, v138, v22 dst_sel:DWORD dst_unused:UNUSED_PAD src0_sel:WORD_1 src1_sel:DWORD
	ds_write_b32 v119, v9 offset:7776
	v_pack_b32_f16 v9, v11, v13
	v_fmac_f16_e32 v12, v140, v21
	v_mul_f16_sdwa v11, v138, v15 dst_sel:DWORD dst_unused:UNUSED_PAD src0_sel:WORD_1 src1_sel:DWORD
	v_fma_f16 v13, v138, v15, -v16
	s_waitcnt vmcnt(27)
	v_lshrrev_b32_e32 v15, 16, v23
	s_waitcnt vmcnt(26)
	v_mul_f16_sdwa v16, v137, v23 dst_sel:DWORD dst_unused:UNUSED_PAD src0_sel:WORD_1 src1_sel:DWORD
	ds_write2_b32 v119, v10, v9 offset1:60
	v_pack_b32_f16 v9, v12, v14
	v_fmac_f16_e32 v11, v138, v22
	v_mul_f16_sdwa v10, v137, v15 dst_sel:DWORD dst_unused:UNUSED_PAD src0_sel:WORD_1 src1_sel:DWORD
	s_waitcnt vmcnt(25)
	v_lshrrev_b32_e32 v12, 16, v24
	v_fma_f16 v14, v137, v15, -v16
	v_mul_f16_sdwa v15, v136, v24 dst_sel:DWORD dst_unused:UNUSED_PAD src0_sel:WORD_1 src1_sel:DWORD
	v_pack_b32_f16 v11, v11, v13
	v_fmac_f16_e32 v10, v137, v23
	v_mul_f16_sdwa v13, v136, v12 dst_sel:DWORD dst_unused:UNUSED_PAD src0_sel:WORD_1 src1_sel:DWORD
	s_waitcnt vmcnt(23)
	v_lshrrev_b32_e32 v16, 16, v25
	v_fma_f16 v12, v136, v12, -v15
	v_mul_f16_sdwa v15, v135, v25 dst_sel:DWORD dst_unused:UNUSED_PAD src0_sel:WORD_1 src1_sel:DWORD
	v_pack_b32_f16 v10, v10, v14
	v_fmac_f16_e32 v13, v136, v24
	v_mul_f16_sdwa v14, v135, v16 dst_sel:DWORD dst_unused:UNUSED_PAD src0_sel:WORD_1 src1_sel:DWORD
	s_waitcnt vmcnt(20)
	v_lshrrev_b32_e32 v17, 16, v26
	v_mul_f16_sdwa v18, v134, v26 dst_sel:DWORD dst_unused:UNUSED_PAD src0_sel:WORD_1 src1_sel:DWORD
	v_fma_f16 v15, v135, v16, -v15
	v_pack_b32_f16 v12, v13, v12
	v_fmac_f16_e32 v14, v135, v25
	v_mul_f16_sdwa v13, v134, v17 dst_sel:DWORD dst_unused:UNUSED_PAD src0_sel:WORD_1 src1_sel:DWORD
	v_fma_f16 v16, v134, v17, -v18
	s_waitcnt vmcnt(18)
	v_lshrrev_b32_e32 v17, 16, v27
	v_mul_f16_sdwa v18, v133, v27 dst_sel:DWORD dst_unused:UNUSED_PAD src0_sel:WORD_1 src1_sel:DWORD
	ds_write2_b32 v6, v10, v44 offset0:68 offset1:128
	v_pack_b32_f16 v10, v14, v15
	v_fmac_f16_e32 v13, v134, v26
	s_waitcnt vmcnt(17)
	v_lshrrev_b32_e32 v15, 16, v28
	v_mul_f16_sdwa v14, v133, v17 dst_sel:DWORD dst_unused:UNUSED_PAD src0_sel:WORD_1 src1_sel:DWORD
	v_fma_f16 v17, v133, v17, -v18
	v_mul_f16_sdwa v18, v132, v28 dst_sel:DWORD dst_unused:UNUSED_PAD src0_sel:WORD_1 src1_sel:DWORD
	v_pack_b32_f16 v13, v13, v16
	v_mul_f16_sdwa v16, v132, v15 dst_sel:DWORD dst_unused:UNUSED_PAD src0_sel:WORD_1 src1_sel:DWORD
	v_fmac_f16_e32 v14, v133, v27
	s_waitcnt vmcnt(16)
	v_lshrrev_b32_e32 v19, 16, v29
	v_mul_f16_sdwa v20, v131, v29 dst_sel:DWORD dst_unused:UNUSED_PAD src0_sel:WORD_1 src1_sel:DWORD
	v_fma_f16 v15, v132, v15, -v18
	v_fmac_f16_e32 v16, v132, v28
	v_pack_b32_f16 v14, v14, v17
	v_mul_f16_sdwa v17, v131, v19 dst_sel:DWORD dst_unused:UNUSED_PAD src0_sel:WORD_1 src1_sel:DWORD
	v_fma_f16 v18, v131, v19, -v20
	s_waitcnt vmcnt(15)
	v_lshrrev_b32_e32 v19, 16, v30
	s_waitcnt vmcnt(14)
	v_mul_f16_sdwa v20, v130, v30 dst_sel:DWORD dst_unused:UNUSED_PAD src0_sel:WORD_1 src1_sel:DWORD
	v_pack_b32_f16 v15, v16, v15
	s_waitcnt vmcnt(13)
	v_lshrrev_b32_e32 v16, 16, v31
	v_mul_f16_sdwa v22, v129, v31 dst_sel:DWORD dst_unused:UNUSED_PAD src0_sel:WORD_1 src1_sel:DWORD
	v_mul_f16_sdwa v21, v130, v19 dst_sel:DWORD dst_unused:UNUSED_PAD src0_sel:WORD_1 src1_sel:DWORD
	v_fma_f16 v19, v130, v19, -v20
	s_waitcnt vmcnt(12)
	v_lshrrev_b32_e32 v23, 16, v32
	v_mul_f16_sdwa v20, v129, v16 dst_sel:DWORD dst_unused:UNUSED_PAD src0_sel:WORD_1 src1_sel:DWORD
	v_fmac_f16_e32 v17, v131, v29
	v_fmac_f16_e32 v21, v130, v30
	v_fma_f16 v16, v129, v16, -v22
	s_waitcnt vmcnt(11)
	v_mul_f16_sdwa v22, v128, v32 dst_sel:DWORD dst_unused:UNUSED_PAD src0_sel:WORD_1 src1_sel:DWORD
	v_fmac_f16_e32 v20, v129, v31
	v_mul_f16_sdwa v24, v128, v23 dst_sel:DWORD dst_unused:UNUSED_PAD src0_sel:WORD_1 src1_sel:DWORD
	v_pack_b32_f16 v17, v17, v18
	v_pack_b32_f16 v18, v21, v19
	v_fma_f16 v19, v128, v23, -v22
	v_pack_b32_f16 v16, v20, v16
	s_waitcnt vmcnt(7)
	v_lshrrev_b32_e32 v20, 16, v33
	v_fmac_f16_e32 v24, v128, v32
	ds_write_b32 v119, v18 offset:480
	v_mul_f16_sdwa v18, v126, v33 dst_sel:DWORD dst_unused:UNUSED_PAD src0_sel:WORD_1 src1_sel:DWORD
	ds_write2_b32 v4, v9, v16 offset0:20 offset1:80
	v_mul_f16_sdwa v16, v126, v20 dst_sel:DWORD dst_unused:UNUSED_PAD src0_sel:WORD_1 src1_sel:DWORD
	v_pack_b32_f16 v9, v24, v19
	s_waitcnt vmcnt(6)
	v_lshrrev_b32_e32 v19, 16, v34
	v_fma_f16 v18, v126, v20, -v18
	v_mul_f16_sdwa v20, v125, v34 dst_sel:DWORD dst_unused:UNUSED_PAD src0_sel:WORD_1 src1_sel:DWORD
	v_fmac_f16_e32 v16, v126, v33
	ds_write2_b32 v39, v11, v9 offset0:108 offset1:168
	v_mul_f16_sdwa v9, v125, v19 dst_sel:DWORD dst_unused:UNUSED_PAD src0_sel:WORD_1 src1_sel:DWORD
	s_waitcnt vmcnt(5)
	v_lshrrev_b32_e32 v11, 16, v35
	v_mul_f16_sdwa v21, v123, v35 dst_sel:DWORD dst_unused:UNUSED_PAD src0_sel:WORD_1 src1_sel:DWORD
	v_pack_b32_f16 v16, v16, v18
	v_fma_f16 v19, v125, v19, -v20
	v_fmac_f16_e32 v9, v125, v34
	s_waitcnt vmcnt(4)
	v_lshrrev_b32_e32 v20, 16, v36
	v_mul_f16_sdwa v18, v123, v11 dst_sel:DWORD dst_unused:UNUSED_PAD src0_sel:WORD_1 src1_sel:DWORD
	v_fma_f16 v11, v123, v11, -v21
	v_mul_f16_sdwa v21, v122, v36 dst_sel:DWORD dst_unused:UNUSED_PAD src0_sel:WORD_1 src1_sel:DWORD
	ds_write2_b32 v8, v12, v16 offset0:156 offset1:216
	s_waitcnt vmcnt(3)
	v_lshrrev_b32_e32 v12, 16, v37
	v_pack_b32_f16 v9, v9, v19
	s_waitcnt vmcnt(2)
	v_lshrrev_b32_e32 v19, 16, v38
	v_mul_f16_sdwa v16, v122, v20 dst_sel:DWORD dst_unused:UNUSED_PAD src0_sel:WORD_1 src1_sel:DWORD
	v_fma_f16 v20, v122, v20, -v21
	s_waitcnt vmcnt(0)
	v_mul_f16_sdwa v21, v121, v37 dst_sel:DWORD dst_unused:UNUSED_PAD src0_sel:WORD_1 src1_sel:DWORD
	v_mul_f16_sdwa v22, v121, v12 dst_sel:DWORD dst_unused:UNUSED_PAD src0_sel:WORD_1 src1_sel:DWORD
	;; [unrolled: 1-line block ×4, first 2 shown]
	v_fmac_f16_e32 v18, v123, v35
	v_fmac_f16_e32 v16, v122, v36
	v_fma_f16 v12, v121, v12, -v21
	v_fmac_f16_e32 v22, v121, v37
	v_fma_f16 v19, v120, v19, -v23
	v_fmac_f16_e32 v24, v120, v38
	ds_write2_b32 v5, v10, v9 offset0:116 offset1:176
	v_pack_b32_f16 v10, v18, v11
	v_add_nc_u32_e32 v9, 0x1e00, v119
	v_pack_b32_f16 v11, v16, v20
	v_pack_b32_f16 v12, v22, v12
	;; [unrolled: 1-line block ×3, first 2 shown]
	ds_write2_b32 v7, v13, v10 offset0:76 offset1:136
	ds_write2_b32 v3, v14, v11 offset0:36 offset1:96
	;; [unrolled: 1-line block ×4, first 2 shown]
	s_and_saveexec_b32 s2, vcc_lo
	s_cbranch_execz .LBB0_3
; %bb.2:
	v_add_co_u32 v0, s0, v0, s0
	v_add_co_ci_u32_e64 v1, s0, s1, v1, s0
	v_add_nc_u32_e32 v28, 0x280, v119
	v_add_co_u32 v10, s0, v0, s16
	v_add_co_ci_u32_e64 v11, s0, s17, v1, s0
	global_load_dword v2, v[0:1], off
	v_add_co_u32 v12, s0, v10, s16
	v_add_co_ci_u32_e64 v13, s0, s17, v11, s0
	v_add_nc_u32_e32 v29, 0x900, v119
	v_add_co_u32 v0, s0, v12, s16
	v_add_co_ci_u32_e64 v1, s0, s17, v13, s0
	global_load_dword v14, v[76:77], off offset:720
	global_load_dword v15, v[10:11], off
	global_load_dword v16, v[76:77], off offset:1584
	global_load_dword v12, v[12:13], off
	global_load_dword v13, v[0:1], off
	v_add_co_u32 v0, s0, v0, s16
	v_add_co_ci_u32_e64 v1, s0, s17, v1, s0
	s_clause 0x1
	global_load_dword v17, v[74:75], off offset:400
	global_load_dword v18, v[74:75], off offset:1264
	v_add_co_u32 v10, s0, v0, s16
	v_add_co_ci_u32_e64 v11, s0, s17, v1, s0
	global_load_dword v19, v[0:1], off
	v_add_co_u32 v0, s0, v10, s16
	v_add_co_ci_u32_e64 v1, s0, s17, v11, s0
	global_load_dword v20, v[72:73], off offset:80
	global_load_dword v21, v[10:11], off
	global_load_dword v22, v[72:73], off offset:944
	global_load_dword v23, v[0:1], off
	v_add_co_u32 v0, s0, v0, s16
	v_add_co_ci_u32_e64 v1, s0, s17, v1, s0
	global_load_dword v24, v[72:73], off offset:1808
	v_add_co_u32 v10, s0, v0, s16
	v_add_co_ci_u32_e64 v11, s0, s17, v1, s0
	global_load_dword v25, v[0:1], off
	v_add_co_u32 v0, s0, v10, s16
	v_add_co_ci_u32_e64 v1, s0, s17, v11, s0
	v_add_nc_u32_e32 v33, 0x1700, v119
	global_load_dword v26, v[68:69], off offset:624
	global_load_dword v10, v[10:11], off
	global_load_dword v0, v[0:1], off
	s_clause 0x1
	global_load_dword v1, v[68:69], off offset:1488
	global_load_dword v11, v[70:71], off offset:304
	s_waitcnt vmcnt(19)
	v_lshrrev_b32_e32 v27, 16, v2
	s_waitcnt vmcnt(18)
	v_mul_f16_sdwa v30, v14, v2 dst_sel:DWORD dst_unused:UNUSED_PAD src0_sel:WORD_1 src1_sel:DWORD
	v_mul_f16_sdwa v31, v14, v27 dst_sel:DWORD dst_unused:UNUSED_PAD src0_sel:WORD_1 src1_sel:DWORD
	s_waitcnt vmcnt(17)
	v_lshrrev_b32_e32 v32, 16, v15
	s_waitcnt vmcnt(16)
	v_mul_f16_sdwa v34, v16, v15 dst_sel:DWORD dst_unused:UNUSED_PAD src0_sel:WORD_1 src1_sel:DWORD
	v_fma_f16 v27, v14, v27, -v30
	v_fmac_f16_e32 v31, v14, v2
	v_mul_f16_sdwa v2, v16, v32 dst_sel:DWORD dst_unused:UNUSED_PAD src0_sel:WORD_1 src1_sel:DWORD
	s_waitcnt vmcnt(15)
	v_lshrrev_b32_e32 v14, 16, v12
	v_fma_f16 v30, v16, v32, -v34
	s_waitcnt vmcnt(13)
	v_mul_f16_sdwa v32, v17, v12 dst_sel:DWORD dst_unused:UNUSED_PAD src0_sel:WORD_1 src1_sel:DWORD
	v_pack_b32_f16 v27, v31, v27
	v_fmac_f16_e32 v2, v16, v15
	v_mul_f16_sdwa v15, v17, v14 dst_sel:DWORD dst_unused:UNUSED_PAD src0_sel:WORD_1 src1_sel:DWORD
	v_lshrrev_b32_e32 v16, 16, v13
	v_fma_f16 v14, v17, v14, -v32
	s_waitcnt vmcnt(12)
	v_mul_f16_sdwa v31, v18, v13 dst_sel:DWORD dst_unused:UNUSED_PAD src0_sel:WORD_1 src1_sel:DWORD
	v_pack_b32_f16 v2, v2, v30
	v_fmac_f16_e32 v15, v17, v12
	v_mul_f16_sdwa v12, v18, v16 dst_sel:DWORD dst_unused:UNUSED_PAD src0_sel:WORD_1 src1_sel:DWORD
	s_waitcnt vmcnt(11)
	v_lshrrev_b32_e32 v17, 16, v19
	s_waitcnt vmcnt(10)
	v_mul_f16_sdwa v30, v20, v19 dst_sel:DWORD dst_unused:UNUSED_PAD src0_sel:WORD_1 src1_sel:DWORD
	v_fma_f16 v16, v18, v16, -v31
	v_pack_b32_f16 v14, v15, v14
	v_fmac_f16_e32 v12, v18, v13
	v_mul_f16_sdwa v13, v20, v17 dst_sel:DWORD dst_unused:UNUSED_PAD src0_sel:WORD_1 src1_sel:DWORD
	v_fma_f16 v15, v20, v17, -v30
	s_waitcnt vmcnt(9)
	v_lshrrev_b32_e32 v17, 16, v21
	s_waitcnt vmcnt(8)
	v_mul_f16_sdwa v18, v22, v21 dst_sel:DWORD dst_unused:UNUSED_PAD src0_sel:WORD_1 src1_sel:DWORD
	v_pack_b32_f16 v12, v12, v16
	v_fmac_f16_e32 v13, v20, v19
	s_waitcnt vmcnt(7)
	v_lshrrev_b32_e32 v16, 16, v23
	v_mul_f16_sdwa v19, v22, v17 dst_sel:DWORD dst_unused:UNUSED_PAD src0_sel:WORD_1 src1_sel:DWORD
	v_fma_f16 v17, v22, v17, -v18
	s_waitcnt vmcnt(6)
	v_mul_f16_sdwa v18, v24, v23 dst_sel:DWORD dst_unused:UNUSED_PAD src0_sel:WORD_1 src1_sel:DWORD
	v_pack_b32_f16 v13, v13, v15
	v_mul_f16_sdwa v15, v24, v16 dst_sel:DWORD dst_unused:UNUSED_PAD src0_sel:WORD_1 src1_sel:DWORD
	s_waitcnt vmcnt(5)
	v_lshrrev_b32_e32 v20, 16, v25
	v_fmac_f16_e32 v19, v22, v21
	v_fma_f16 v16, v24, v16, -v18
	s_waitcnt vmcnt(4)
	v_mul_f16_sdwa v18, v26, v25 dst_sel:DWORD dst_unused:UNUSED_PAD src0_sel:WORD_1 src1_sel:DWORD
	v_fmac_f16_e32 v15, v24, v23
	s_waitcnt vmcnt(3)
	v_lshrrev_b32_e32 v21, 16, v10
	s_waitcnt vmcnt(2)
	v_lshrrev_b32_e32 v23, 16, v0
	v_mul_f16_sdwa v22, v26, v20 dst_sel:DWORD dst_unused:UNUSED_PAD src0_sel:WORD_1 src1_sel:DWORD
	v_fma_f16 v18, v26, v20, -v18
	s_waitcnt vmcnt(1)
	v_mul_f16_sdwa v20, v1, v10 dst_sel:DWORD dst_unused:UNUSED_PAD src0_sel:WORD_1 src1_sel:DWORD
	v_mul_f16_sdwa v24, v1, v21 dst_sel:DWORD dst_unused:UNUSED_PAD src0_sel:WORD_1 src1_sel:DWORD
	s_waitcnt vmcnt(0)
	v_mul_f16_sdwa v30, v11, v0 dst_sel:DWORD dst_unused:UNUSED_PAD src0_sel:WORD_1 src1_sel:DWORD
	v_mul_f16_sdwa v31, v11, v23 dst_sel:DWORD dst_unused:UNUSED_PAD src0_sel:WORD_1 src1_sel:DWORD
	v_fmac_f16_e32 v22, v26, v25
	v_fma_f16 v20, v1, v21, -v20
	v_fmac_f16_e32 v24, v1, v10
	v_fma_f16 v1, v11, v23, -v30
	v_fmac_f16_e32 v31, v11, v0
	v_pack_b32_f16 v0, v19, v17
	v_pack_b32_f16 v10, v15, v16
	;; [unrolled: 1-line block ×5, first 2 shown]
	v_add_nc_u32_e32 v16, 0x1d80, v119
	ds_write2_b32 v28, v27, v2 offset0:20 offset1:236
	ds_write2_b32 v29, v14, v12 offset0:36 offset1:252
	;; [unrolled: 1-line block ×5, first 2 shown]
.LBB0_3:
	s_or_b32 exec_lo, exec_lo, s2
	v_add_nc_u32_e32 v0, 0x800, v119
	v_add_nc_u32_e32 v1, 0xe00, v119
	s_waitcnt lgkmcnt(0)
	s_barrier
	buffer_gl0_inv
	ds_read2_b32 v[38:39], v119 offset1:60
	ds_read2_b32 v[34:35], v119 offset0:120 offset1:216
	ds_read2_b32 v[36:37], v4 offset0:176 offset1:236
	;; [unrolled: 1-line block ×4, first 2 shown]
	v_add_nc_u32_e32 v0, 0x1c00, v119
	ds_read2_b32 v[14:15], v1 offset0:88 offset1:184
	ds_read2_b32 v[26:27], v7 offset0:16 offset1:76
	;; [unrolled: 1-line block ×10, first 2 shown]
	s_load_dwordx2 s[0:1], s[4:5], 0x8
                                        ; implicit-def: $vgpr6
                                        ; implicit-def: $vgpr8
                                        ; implicit-def: $vgpr4
                                        ; implicit-def: $vgpr2
                                        ; implicit-def: $vgpr0
	s_and_saveexec_b32 s2, vcc_lo
	s_cbranch_execz .LBB0_5
; %bb.4:
	v_add_nc_u32_e32 v0, 0x280, v119
	v_add_nc_u32_e32 v1, 0x900, v119
	;; [unrolled: 1-line block ×5, first 2 shown]
	ds_read2_b32 v[6:7], v0 offset0:20 offset1:236
	ds_read2_b32 v[8:9], v1 offset0:36 offset1:252
	ds_read2_b32 v[4:5], v2 offset0:20 offset1:236
	ds_read2_b32 v[2:3], v3 offset0:4 offset1:220
	ds_read2_b32 v[0:1], v40 offset0:20 offset1:236
.LBB0_5:
	s_or_b32 exec_lo, exec_lo, s2
	s_waitcnt lgkmcnt(0)
	v_add_f16_e32 v40, v22, v26
	v_sub_f16_sdwa v42, v36, v24 dst_sel:DWORD dst_unused:UNUSED_PAD src0_sel:WORD_1 src1_sel:WORD_1
	v_sub_f16_sdwa v43, v22, v26 dst_sel:DWORD dst_unused:UNUSED_PAD src0_sel:WORD_1 src1_sel:WORD_1
	v_sub_f16_e32 v45, v24, v26
	v_sub_f16_e32 v46, v36, v22
	v_fma_f16 v49, -0.5, v40, v38
	v_add_f16_e32 v47, v36, v24
	v_lshrrev_b32_e32 v51, 16, v38
	v_sub_f16_e32 v52, v22, v36
	v_add_f16_e32 v45, v46, v45
	v_fmamk_f16 v44, v42, 0x3b9c, v49
	v_fmac_f16_e32 v49, 0xbb9c, v42
	v_fma_f16 v50, -0.5, v47, v38
	v_add_f16_sdwa v46, v22, v26 dst_sel:DWORD dst_unused:UNUSED_PAD src0_sel:WORD_1 src1_sel:WORD_1
	v_sub_f16_sdwa v54, v36, v22 dst_sel:DWORD dst_unused:UNUSED_PAD src0_sel:WORD_1 src1_sel:WORD_1
	v_fmac_f16_e32 v44, 0x38b4, v43
	v_fmac_f16_e32 v49, 0xb8b4, v43
	v_fmamk_f16 v47, v43, 0xbb9c, v50
	v_fma_f16 v57, -0.5, v46, v51
	v_fmac_f16_e32 v50, 0x3b9c, v43
	v_fmac_f16_e32 v44, 0x34f2, v45
	;; [unrolled: 1-line block ×3, first 2 shown]
	v_sub_f16_e32 v45, v36, v24
	v_fmac_f16_e32 v47, 0x38b4, v42
	v_sub_f16_e32 v46, v26, v24
	v_sub_f16_e32 v43, v22, v26
	v_sub_f16_sdwa v55, v24, v26 dst_sel:DWORD dst_unused:UNUSED_PAD src0_sel:WORD_1 src1_sel:WORD_1
	v_fmamk_f16 v53, v45, 0xbb9c, v57
	v_fmac_f16_e32 v50, 0xb8b4, v42
	v_add_f16_sdwa v42, v36, v24 dst_sel:DWORD dst_unused:UNUSED_PAD src0_sel:WORD_1 src1_sel:WORD_1
	v_fmac_f16_e32 v57, 0x3b9c, v45
	v_add_f16_e32 v46, v52, v46
	v_fmac_f16_e32 v53, 0xb8b4, v43
	v_add_f16_e32 v52, v54, v55
	v_fmac_f16_e32 v51, -0.5, v42
	v_fmac_f16_e32 v57, 0x38b4, v43
	v_add_f16_e32 v42, v15, v13
	v_sub_f16_e32 v55, v33, v15
	v_fmac_f16_e32 v53, 0x34f2, v52
	v_fmamk_f16 v58, v43, 0x3b9c, v51
	v_fmac_f16_e32 v57, 0x34f2, v52
	v_fmac_f16_e32 v51, 0xbb9c, v43
	v_sub_f16_e32 v52, v11, v13
	v_add_f16_e32 v56, v33, v11
	v_pk_add_f16 v38, v38, v36
	v_fmac_f16_e32 v47, 0x34f2, v46
	v_fmac_f16_e32 v50, 0x34f2, v46
	v_sub_f16_sdwa v36, v22, v36 dst_sel:DWORD dst_unused:UNUSED_PAD src0_sel:WORD_1 src1_sel:WORD_1
	v_sub_f16_sdwa v46, v26, v24 dst_sel:DWORD dst_unused:UNUSED_PAD src0_sel:WORD_1 src1_sel:WORD_1
	v_fma_f16 v54, -0.5, v42, v35
	v_sub_f16_sdwa v42, v33, v11 dst_sel:DWORD dst_unused:UNUSED_PAD src0_sel:WORD_1 src1_sel:WORD_1
	v_fmac_f16_e32 v58, 0xb8b4, v45
	v_sub_f16_sdwa v43, v15, v13 dst_sel:DWORD dst_unused:UNUSED_PAD src0_sel:WORD_1 src1_sel:WORD_1
	v_fmac_f16_e32 v51, 0x38b4, v45
	v_add_f16_e32 v45, v55, v52
	v_fma_f16 v52, -0.5, v56, v35
	v_add_f16_sdwa v56, v15, v13 dst_sel:DWORD dst_unused:UNUSED_PAD src0_sel:WORD_1 src1_sel:WORD_1
	v_lshrrev_b32_e32 v59, 16, v35
	v_add_f16_sdwa v61, v33, v11 dst_sel:DWORD dst_unused:UNUSED_PAD src0_sel:WORD_1 src1_sel:WORD_1
	v_add_f16_e32 v36, v36, v46
	v_fmamk_f16 v46, v42, 0x3b9c, v54
	v_fmac_f16_e32 v54, 0xbb9c, v42
	v_fmamk_f16 v55, v43, 0xbb9c, v52
	v_fmac_f16_e32 v52, 0x3b9c, v43
	v_fma_f16 v56, -0.5, v56, v59
	v_sub_f16_e32 v62, v15, v13
	v_fmac_f16_e32 v59, -0.5, v61
	v_fmac_f16_e32 v58, 0x34f2, v36
	v_fmac_f16_e32 v46, 0x38b4, v43
	;; [unrolled: 1-line block ×3, first 2 shown]
	v_pk_add_f16 v36, v35, v33
	v_fmac_f16_e32 v54, 0xb8b4, v43
	v_sub_f16_e32 v35, v13, v11
	v_sub_f16_e32 v60, v15, v33
	;; [unrolled: 1-line block ×3, first 2 shown]
	v_fmac_f16_e32 v55, 0x38b4, v42
	v_fmac_f16_e32 v52, 0xb8b4, v42
	v_fmamk_f16 v61, v62, 0x3b9c, v59
	v_sub_f16_sdwa v42, v15, v33 dst_sel:DWORD dst_unused:UNUSED_PAD src0_sel:WORD_1 src1_sel:WORD_1
	v_sub_f16_sdwa v63, v13, v11 dst_sel:DWORD dst_unused:UNUSED_PAD src0_sel:WORD_1 src1_sel:WORD_1
	v_fmac_f16_e32 v59, 0xbb9c, v62
	v_add_f16_e32 v35, v60, v35
	v_fmamk_f16 v60, v43, 0xbb9c, v56
	v_sub_f16_sdwa v33, v33, v15 dst_sel:DWORD dst_unused:UNUSED_PAD src0_sel:WORD_1 src1_sel:WORD_1
	v_sub_f16_sdwa v64, v11, v13 dst_sel:DWORD dst_unused:UNUSED_PAD src0_sel:WORD_1 src1_sel:WORD_1
	v_add_f16_e32 v42, v42, v63
	v_fmac_f16_e32 v59, 0x38b4, v43
	v_fmac_f16_e32 v56, 0x3b9c, v43
	;; [unrolled: 1-line block ×4, first 2 shown]
	v_add_f16_e32 v33, v33, v64
	v_fmac_f16_e32 v52, 0x34f2, v35
	v_fmac_f16_e32 v59, 0x34f2, v42
	;; [unrolled: 1-line block ×6, first 2 shown]
	v_mul_f16_e32 v63, 0x3a79, v46
	v_mul_f16_e32 v35, 0x34f2, v52
	v_fmac_f16_e32 v54, 0x34f2, v45
	v_fmac_f16_e32 v56, 0x34f2, v33
	v_mul_f16_e32 v65, 0xb8b4, v46
	v_mul_f16_e32 v45, 0x34f2, v59
	v_fmac_f16_e32 v61, 0x34f2, v42
	v_fmac_f16_e32 v63, 0x38b4, v60
	v_fma_f16 v62, v59, 0x3b9c, -v35
	v_mul_f16_e32 v33, 0x3a79, v54
	v_mul_f16_e32 v66, 0xbb9c, v55
	;; [unrolled: 1-line block ×3, first 2 shown]
	v_fmac_f16_e32 v65, 0x3a79, v60
	v_fma_f16 v60, v52, 0xbb9c, -v45
	v_add_f16_e32 v52, v23, v27
	v_mul_f16_e32 v64, 0x3b9c, v61
	v_add_f16_e32 v42, v44, v63
	v_add_f16_e32 v43, v50, v62
	v_fma_f16 v59, v56, 0x38b4, -v33
	v_fmac_f16_e32 v66, 0x34f2, v61
	v_fma_f16 v61, v54, 0xb8b4, -v46
	v_sub_f16_e32 v46, v44, v63
	v_sub_f16_e32 v44, v50, v62
	v_fma_f16 v62, -0.5, v52, v39
	v_sub_f16_sdwa v63, v37, v25 dst_sel:DWORD dst_unused:UNUSED_PAD src0_sel:WORD_1 src1_sel:WORD_1
	v_fmac_f16_e32 v64, 0x34f2, v55
	v_add_f16_e32 v33, v49, v59
	v_add_f16_e32 v55, v53, v65
	;; [unrolled: 1-line block ×4, first 2 shown]
	v_sub_f16_e32 v50, v49, v59
	v_sub_f16_e32 v52, v53, v65
	;; [unrolled: 1-line block ×4, first 2 shown]
	v_fmamk_f16 v49, v63, 0x3b9c, v62
	v_sub_f16_sdwa v58, v23, v27 dst_sel:DWORD dst_unused:UNUSED_PAD src0_sel:WORD_1 src1_sel:WORD_1
	v_sub_f16_e32 v59, v25, v27
	v_sub_f16_e32 v60, v37, v23
	v_fmac_f16_e32 v62, 0xbb9c, v63
	v_add_f16_e32 v35, v47, v64
	v_sub_f16_e32 v47, v47, v64
	v_add_f16_e32 v64, v37, v25
	v_fmac_f16_e32 v49, 0x38b4, v58
	v_add_f16_e32 v59, v60, v59
	v_fmac_f16_e32 v62, 0xb8b4, v58
	v_add_f16_sdwa v60, v23, v27 dst_sel:DWORD dst_unused:UNUSED_PAD src0_sel:WORD_1 src1_sel:WORD_1
	v_lshrrev_b32_e32 v79, 16, v39
	v_add_f16_e32 v45, v57, v61
	v_sub_f16_e32 v57, v57, v61
	v_fma_f16 v66, -0.5, v64, v39
	v_fmac_f16_e32 v49, 0x34f2, v59
	v_fmac_f16_e32 v62, 0x34f2, v59
	v_fma_f16 v80, -0.5, v60, v79
	v_sub_f16_e32 v59, v37, v25
	v_sub_f16_e32 v60, v27, v25
	;; [unrolled: 1-line block ×3, first 2 shown]
	v_fmamk_f16 v65, v58, 0xbb9c, v66
	v_fmac_f16_e32 v66, 0x3b9c, v58
	v_fmamk_f16 v67, v59, 0xbb9c, v80
	v_sub_f16_e32 v58, v23, v27
	v_sub_f16_sdwa v64, v37, v23 dst_sel:DWORD dst_unused:UNUSED_PAD src0_sel:WORD_1 src1_sel:WORD_1
	v_sub_f16_sdwa v81, v25, v27 dst_sel:DWORD dst_unused:UNUSED_PAD src0_sel:WORD_1 src1_sel:WORD_1
	v_add_f16_e32 v60, v61, v60
	v_add_f16_sdwa v61, v37, v25 dst_sel:DWORD dst_unused:UNUSED_PAD src0_sel:WORD_1 src1_sel:WORD_1
	v_fmac_f16_e32 v80, 0x3b9c, v59
	v_fmac_f16_e32 v65, 0x38b4, v63
	;; [unrolled: 1-line block ×4, first 2 shown]
	v_add_f16_e32 v63, v64, v81
	v_fmac_f16_e32 v79, -0.5, v61
	v_fmac_f16_e32 v80, 0x38b4, v58
	v_fmac_f16_e32 v65, 0x34f2, v60
	v_fmac_f16_e32 v66, 0x34f2, v60
	v_fmac_f16_e32 v67, 0x34f2, v63
	v_add_f16_e32 v60, v20, v18
	v_fmamk_f16 v81, v58, 0x3b9c, v79
	v_fmac_f16_e32 v80, 0x34f2, v63
	v_fmac_f16_e32 v79, 0xbb9c, v58
	v_sub_f16_e32 v63, v16, v18
	v_sub_f16_e32 v82, v28, v20
	v_add_f16_e32 v83, v28, v16
	v_pk_add_f16 v39, v39, v37
	v_sub_f16_sdwa v37, v23, v37 dst_sel:DWORD dst_unused:UNUSED_PAD src0_sel:WORD_1 src1_sel:WORD_1
	v_sub_f16_sdwa v61, v27, v25 dst_sel:DWORD dst_unused:UNUSED_PAD src0_sel:WORD_1 src1_sel:WORD_1
	v_fma_f16 v64, -0.5, v60, v30
	v_sub_f16_sdwa v60, v28, v16 dst_sel:DWORD dst_unused:UNUSED_PAD src0_sel:WORD_1 src1_sel:WORD_1
	v_fmac_f16_e32 v81, 0xb8b4, v59
	v_sub_f16_sdwa v58, v20, v18 dst_sel:DWORD dst_unused:UNUSED_PAD src0_sel:WORD_1 src1_sel:WORD_1
	v_fmac_f16_e32 v79, 0x38b4, v59
	v_add_f16_e32 v59, v82, v63
	v_fma_f16 v63, -0.5, v83, v30
	v_add_f16_sdwa v83, v20, v18 dst_sel:DWORD dst_unused:UNUSED_PAD src0_sel:WORD_1 src1_sel:WORD_1
	v_lshrrev_b32_e32 v84, 16, v30
	v_add_f16_sdwa v86, v28, v16 dst_sel:DWORD dst_unused:UNUSED_PAD src0_sel:WORD_1 src1_sel:WORD_1
	v_add_f16_e32 v37, v37, v61
	v_fmamk_f16 v61, v60, 0x3b9c, v64
	v_fmac_f16_e32 v64, 0xbb9c, v60
	v_fmamk_f16 v82, v58, 0xbb9c, v63
	v_fmac_f16_e32 v63, 0x3b9c, v58
	v_fma_f16 v83, -0.5, v83, v84
	v_sub_f16_e32 v87, v20, v18
	v_fmac_f16_e32 v84, -0.5, v86
	v_fmac_f16_e32 v61, 0x38b4, v58
	v_fmac_f16_e32 v64, 0xb8b4, v58
	v_sub_f16_e32 v58, v28, v16
	v_fmac_f16_e32 v82, 0x38b4, v60
	v_fmac_f16_e32 v63, 0xb8b4, v60
	v_fmamk_f16 v86, v87, 0x3b9c, v84
	v_sub_f16_sdwa v60, v20, v28 dst_sel:DWORD dst_unused:UNUSED_PAD src0_sel:WORD_1 src1_sel:WORD_1
	v_sub_f16_sdwa v88, v18, v16 dst_sel:DWORD dst_unused:UNUSED_PAD src0_sel:WORD_1 src1_sel:WORD_1
	v_fmac_f16_e32 v81, 0x34f2, v37
	v_fmac_f16_e32 v79, 0x34f2, v37
	v_pk_add_f16 v37, v30, v28
	v_sub_f16_e32 v30, v18, v16
	v_sub_f16_e32 v85, v20, v28
	v_fmac_f16_e32 v86, 0xb8b4, v58
	v_add_f16_e32 v60, v60, v88
	v_sub_f16_sdwa v28, v28, v20 dst_sel:DWORD dst_unused:UNUSED_PAD src0_sel:WORD_1 src1_sel:WORD_1
	v_sub_f16_sdwa v89, v16, v18 dst_sel:DWORD dst_unused:UNUSED_PAD src0_sel:WORD_1 src1_sel:WORD_1
	v_add_f16_e32 v30, v85, v30
	v_fmamk_f16 v85, v58, 0xbb9c, v83
	v_fmac_f16_e32 v84, 0xbb9c, v87
	v_fmac_f16_e32 v86, 0x34f2, v60
	;; [unrolled: 1-line block ×5, first 2 shown]
	v_add_f16_e32 v28, v28, v89
	v_fmac_f16_e32 v82, 0x34f2, v30
	v_fmac_f16_e32 v63, 0x34f2, v30
	;; [unrolled: 1-line block ×3, first 2 shown]
	v_mul_f16_e32 v89, 0x3b9c, v86
	v_fmac_f16_e32 v83, 0x38b4, v87
	v_fmac_f16_e32 v64, 0x34f2, v59
	;; [unrolled: 1-line block ×4, first 2 shown]
	v_mul_f16_e32 v30, 0x34f2, v63
	v_fmac_f16_e32 v89, 0x34f2, v82
	v_fmac_f16_e32 v83, 0x34f2, v28
	v_mul_f16_e32 v28, 0x3a79, v64
	v_mul_f16_e32 v87, 0xb8b4, v61
	;; [unrolled: 1-line block ×4, first 2 shown]
	v_fma_f16 v59, v84, 0x3b9c, -v30
	v_fma_f16 v90, v83, 0x38b4, -v28
	v_mul_f16_e32 v83, 0x3a79, v83
	v_fmac_f16_e32 v87, 0x3a79, v85
	v_fmac_f16_e32 v82, 0x34f2, v86
	;; [unrolled: 1-line block ×3, first 2 shown]
	v_add_f16_e32 v30, v65, v89
	v_add_f16_e32 v60, v66, v59
	v_mul_f16_e32 v61, 0x34f2, v84
	v_fma_f16 v86, v64, 0xb8b4, -v83
	v_add_f16_e32 v84, v67, v87
	v_add_f16_e32 v83, v81, v82
	;; [unrolled: 1-line block ×3, first 2 shown]
	v_sub_f16_e32 v65, v65, v89
	v_sub_f16_e32 v59, v66, v59
	;; [unrolled: 1-line block ×6, first 2 shown]
	v_add_f16_e32 v89, v32, v10
	v_add_f16_e32 v58, v49, v88
	v_fma_f16 v63, v63, 0xbb9c, -v61
	v_add_f16_e32 v61, v80, v86
	v_sub_f16_e32 v64, v49, v88
	v_fma_f16 v49, -0.5, v91, v34
	v_sub_f16_sdwa v88, v32, v10 dst_sel:DWORD dst_unused:UNUSED_PAD src0_sel:WORD_1 src1_sel:WORD_1
	v_sub_f16_sdwa v81, v14, v12 dst_sel:DWORD dst_unused:UNUSED_PAD src0_sel:WORD_1 src1_sel:WORD_1
	v_sub_f16_e32 v86, v80, v86
	v_add_f16_e32 v80, v87, v82
	v_fma_f16 v82, -0.5, v89, v34
	v_add_f16_e32 v28, v62, v90
	v_add_f16_e32 v85, v79, v63
	v_sub_f16_e32 v62, v62, v90
	v_sub_f16_e32 v63, v79, v63
	v_fmamk_f16 v79, v88, 0x3b9c, v49
	v_fmac_f16_e32 v49, 0xbb9c, v88
	v_fmamk_f16 v90, v81, 0xbb9c, v82
	v_fmac_f16_e32 v82, 0x3b9c, v81
	v_add_f16_sdwa v87, v14, v12 dst_sel:DWORD dst_unused:UNUSED_PAD src0_sel:WORD_1 src1_sel:WORD_1
	v_fmac_f16_e32 v79, 0x38b4, v81
	v_fmac_f16_e32 v49, 0xb8b4, v81
	v_lshrrev_b32_e32 v89, 16, v34
	v_fmac_f16_e32 v90, 0x38b4, v88
	v_sub_f16_e32 v91, v12, v10
	v_sub_f16_e32 v92, v14, v32
	v_fmac_f16_e32 v82, 0xb8b4, v88
	v_add_f16_sdwa v88, v32, v10 dst_sel:DWORD dst_unused:UNUSED_PAD src0_sel:WORD_1 src1_sel:WORD_1
	v_fmac_f16_e32 v79, 0x34f2, v80
	v_fmac_f16_e32 v49, 0x34f2, v80
	v_fma_f16 v80, -0.5, v87, v89
	v_sub_f16_e32 v87, v32, v10
	v_sub_f16_e32 v93, v14, v12
	v_sub_f16_sdwa v94, v32, v14 dst_sel:DWORD dst_unused:UNUSED_PAD src0_sel:WORD_1 src1_sel:WORD_1
	v_sub_f16_sdwa v95, v10, v12 dst_sel:DWORD dst_unused:UNUSED_PAD src0_sel:WORD_1 src1_sel:WORD_1
	v_add_f16_e32 v91, v92, v91
	v_fmac_f16_e32 v89, -0.5, v88
	v_pk_add_f16 v34, v34, v32
	v_fmamk_f16 v81, v87, 0xbb9c, v80
	v_add_f16_e32 v92, v94, v95
	v_fmac_f16_e32 v90, 0x34f2, v91
	v_fmac_f16_e32 v80, 0x3b9c, v87
	;; [unrolled: 1-line block ×3, first 2 shown]
	v_fmamk_f16 v91, v93, 0x3b9c, v89
	v_sub_f16_sdwa v32, v14, v32 dst_sel:DWORD dst_unused:UNUSED_PAD src0_sel:WORD_1 src1_sel:WORD_1
	v_sub_f16_sdwa v94, v12, v10 dst_sel:DWORD dst_unused:UNUSED_PAD src0_sel:WORD_1 src1_sel:WORD_1
	v_fmac_f16_e32 v89, 0xbb9c, v93
	v_fmac_f16_e32 v81, 0xb8b4, v93
	v_add_f16_e32 v88, v21, v19
	v_fmac_f16_e32 v80, 0x38b4, v93
	v_fmac_f16_e32 v91, 0xb8b4, v87
	v_add_f16_e32 v32, v32, v94
	v_add_f16_e32 v93, v29, v17
	v_fmac_f16_e32 v89, 0x38b4, v87
	v_fma_f16 v88, -0.5, v88, v31
	v_sub_f16_sdwa v95, v29, v17 dst_sel:DWORD dst_unused:UNUSED_PAD src0_sel:WORD_1 src1_sel:WORD_1
	v_sub_f16_sdwa v94, v21, v19 dst_sel:DWORD dst_unused:UNUSED_PAD src0_sel:WORD_1 src1_sel:WORD_1
	v_sub_f16_e32 v96, v17, v19
	v_sub_f16_e32 v99, v29, v21
	v_fmac_f16_e32 v91, 0x34f2, v32
	v_fma_f16 v93, -0.5, v93, v31
	v_fmac_f16_e32 v89, 0x34f2, v32
	v_pk_add_f16 v104, v31, v29
	v_add_f16_sdwa v32, v21, v19 dst_sel:DWORD dst_unused:UNUSED_PAD src0_sel:WORD_1 src1_sel:WORD_1
	v_lshrrev_b32_e32 v31, 16, v31
	v_add_f16_sdwa v101, v29, v17 dst_sel:DWORD dst_unused:UNUSED_PAD src0_sel:WORD_1 src1_sel:WORD_1
	v_fmac_f16_e32 v81, 0x34f2, v92
	v_fmac_f16_e32 v80, 0x34f2, v92
	v_fmamk_f16 v92, v95, 0x3b9c, v88
	v_add_f16_e32 v87, v99, v96
	v_fmac_f16_e32 v88, 0xbb9c, v95
	v_fmamk_f16 v96, v94, 0xbb9c, v93
	v_sub_f16_e32 v99, v19, v17
	v_sub_f16_e32 v100, v21, v29
	v_fmac_f16_e32 v93, 0x3b9c, v94
	v_fma_f16 v32, -0.5, v32, v31
	v_sub_f16_e32 v102, v21, v19
	v_fmac_f16_e32 v31, -0.5, v101
	v_fmac_f16_e32 v92, 0x38b4, v94
	v_fmac_f16_e32 v88, 0xb8b4, v94
	v_sub_f16_e32 v94, v29, v17
	v_add_f16_e32 v99, v100, v99
	v_fmac_f16_e32 v93, 0xb8b4, v95
	v_sub_f16_sdwa v100, v29, v21 dst_sel:DWORD dst_unused:UNUSED_PAD src0_sel:WORD_1 src1_sel:WORD_1
	v_fmamk_f16 v101, v102, 0x3b9c, v31
	v_sub_f16_sdwa v29, v21, v29 dst_sel:DWORD dst_unused:UNUSED_PAD src0_sel:WORD_1 src1_sel:WORD_1
	v_sub_f16_sdwa v103, v19, v17 dst_sel:DWORD dst_unused:UNUSED_PAD src0_sel:WORD_1 src1_sel:WORD_1
	v_fmac_f16_e32 v31, 0xbb9c, v102
	v_fmac_f16_e32 v96, 0x38b4, v95
	v_fmamk_f16 v95, v94, 0xbb9c, v32
	v_sub_f16_sdwa v105, v17, v19 dst_sel:DWORD dst_unused:UNUSED_PAD src0_sel:WORD_1 src1_sel:WORD_1
	v_add_f16_e32 v29, v29, v103
	v_fmac_f16_e32 v31, 0x38b4, v94
	v_fmac_f16_e32 v93, 0x34f2, v99
	;; [unrolled: 1-line block ×6, first 2 shown]
	v_add_f16_e32 v100, v100, v105
	v_fmac_f16_e32 v96, 0x34f2, v99
	v_fmac_f16_e32 v31, 0x34f2, v29
	v_mul_f16_e32 v99, 0x34f2, v93
	v_fmac_f16_e32 v32, 0x38b4, v102
	v_fmac_f16_e32 v88, 0x34f2, v87
	v_fmac_f16_e32 v101, 0x34f2, v29
	v_fmac_f16_e32 v95, 0x34f2, v100
	v_mul_f16_e32 v29, 0x3a79, v92
	v_fma_f16 v87, v31, 0x3b9c, -v99
	v_fmac_f16_e32 v32, 0x34f2, v100
	v_mul_f16_e32 v99, 0x3a79, v88
	v_mul_f16_e32 v31, 0x34f2, v31
	;; [unrolled: 1-line block ×3, first 2 shown]
	v_fmac_f16_e32 v29, 0x38b4, v95
	v_mul_f16_e32 v92, 0xb8b4, v92
	v_fma_f16 v99, v32, 0x38b4, -v99
	v_mul_f16_e32 v32, 0x3a79, v32
	v_fma_f16 v93, v93, 0xbb9c, -v31
	v_add_f16_e32 v31, v4, v2
	v_fmac_f16_e32 v94, 0x34f2, v96
	v_add_f16_e32 v105, v79, v29
	v_fmac_f16_e32 v92, 0x3a79, v95
	v_add_f16_e32 v108, v49, v99
	v_fma_f16 v32, v88, 0xb8b4, -v32
	v_sub_f16_e32 v113, v79, v29
	v_fma_f16 v29, -0.5, v31, v6
	v_sub_f16_sdwa v79, v8, v0 dst_sel:DWORD dst_unused:UNUSED_PAD src0_sel:WORD_1 src1_sel:WORD_1
	v_sub_f16_e32 v116, v49, v99
	v_add_f16_e32 v49, v8, v0
	v_add_f16_e32 v106, v90, v94
	;; [unrolled: 1-line block ×3, first 2 shown]
	v_mul_f16_e32 v96, 0xbb9c, v96
	v_add_f16_e32 v109, v81, v92
	v_add_f16_e32 v111, v89, v93
	v_add_f16_e32 v112, v80, v32
	v_sub_f16_e32 v114, v90, v94
	v_sub_f16_e32 v115, v82, v87
	v_sub_f16_e32 v117, v81, v92
	v_fmamk_f16 v31, v79, 0x3b9c, v29
	v_sub_f16_sdwa v81, v4, v2 dst_sel:DWORD dst_unused:UNUSED_PAD src0_sel:WORD_1 src1_sel:WORD_1
	v_sub_f16_e32 v153, v89, v93
	v_sub_f16_e32 v158, v80, v32
	v_fma_f16 v32, -0.5, v49, v6
	v_sub_f16_e32 v49, v0, v2
	v_sub_f16_e32 v80, v8, v4
	v_fmac_f16_e32 v29, 0xbb9c, v79
	v_sub_f16_e32 v82, v2, v0
	v_sub_f16_e32 v88, v4, v8
	v_add_f16_sdwa v90, v4, v2 dst_sel:DWORD dst_unused:UNUSED_PAD src0_sel:WORD_1 src1_sel:WORD_1
	v_lshrrev_b32_e32 v89, 16, v6
	v_fmac_f16_e32 v96, 0x34f2, v101
	v_fmac_f16_e32 v31, 0x38b4, v81
	v_add_f16_e32 v49, v80, v49
	v_fmac_f16_e32 v29, 0xb8b4, v81
	v_add_f16_e32 v80, v88, v82
	v_fma_f16 v90, -0.5, v90, v89
	v_sub_f16_e32 v82, v8, v0
	v_add_f16_e32 v110, v91, v96
	v_sub_f16_e32 v118, v91, v96
	v_fmamk_f16 v87, v81, 0xbb9c, v32
	v_fmac_f16_e32 v31, 0x34f2, v49
	v_fmac_f16_e32 v29, 0x34f2, v49
	v_fmac_f16_e32 v32, 0x3b9c, v81
	v_fmamk_f16 v88, v82, 0xbb9c, v90
	v_sub_f16_e32 v49, v4, v2
	v_sub_f16_sdwa v81, v8, v4 dst_sel:DWORD dst_unused:UNUSED_PAD src0_sel:WORD_1 src1_sel:WORD_1
	v_add_f16_sdwa v91, v8, v0 dst_sel:DWORD dst_unused:UNUSED_PAD src0_sel:WORD_1 src1_sel:WORD_1
	v_sub_f16_sdwa v92, v0, v2 dst_sel:DWORD dst_unused:UNUSED_PAD src0_sel:WORD_1 src1_sel:WORD_1
	v_fmac_f16_e32 v90, 0x3b9c, v82
	v_fmac_f16_e32 v87, 0x38b4, v79
	;; [unrolled: 1-line block ×4, first 2 shown]
	v_fmac_f16_e32 v89, -0.5, v91
	v_add_f16_e32 v79, v81, v92
	v_fmac_f16_e32 v90, 0x38b4, v49
	v_add_f16_e32 v81, v5, v3
	v_sub_f16_sdwa v92, v2, v0 dst_sel:DWORD dst_unused:UNUSED_PAD src0_sel:WORD_1 src1_sel:WORD_1
	v_fmamk_f16 v91, v49, 0x3b9c, v89
	v_fmac_f16_e32 v88, 0x34f2, v79
	v_fmac_f16_e32 v90, 0x34f2, v79
	v_fma_f16 v79, -0.5, v81, v7
	v_sub_f16_sdwa v81, v4, v8 dst_sel:DWORD dst_unused:UNUSED_PAD src0_sel:WORD_1 src1_sel:WORD_1
	v_fmac_f16_e32 v89, 0xbb9c, v49
	v_sub_f16_e32 v94, v1, v3
	v_sub_f16_e32 v95, v9, v5
	v_fmac_f16_e32 v91, 0xb8b4, v82
	v_add_f16_e32 v96, v9, v1
	v_add_f16_e32 v81, v81, v92
	v_fmac_f16_e32 v89, 0x38b4, v82
	v_add_f16_e32 v82, v95, v94
	v_sub_f16_e32 v92, v3, v1
	v_sub_f16_e32 v94, v5, v9
	v_fmac_f16_e32 v87, 0x34f2, v80
	v_fmac_f16_e32 v32, 0x34f2, v80
	v_sub_f16_sdwa v80, v9, v1 dst_sel:DWORD dst_unused:UNUSED_PAD src0_sel:WORD_1 src1_sel:WORD_1
	v_sub_f16_sdwa v93, v5, v3 dst_sel:DWORD dst_unused:UNUSED_PAD src0_sel:WORD_1 src1_sel:WORD_1
	v_fma_f16 v100, -0.5, v96, v7
	v_add_f16_sdwa v95, v5, v3 dst_sel:DWORD dst_unused:UNUSED_PAD src0_sel:WORD_1 src1_sel:WORD_1
	v_lshrrev_b32_e32 v99, 16, v7
	v_add_f16_e32 v92, v94, v92
	v_add_f16_sdwa v94, v9, v1 dst_sel:DWORD dst_unused:UNUSED_PAD src0_sel:WORD_1 src1_sel:WORD_1
	v_fmamk_f16 v49, v80, 0x3b9c, v79
	v_fmac_f16_e32 v91, 0x34f2, v81
	v_fmac_f16_e32 v89, 0x34f2, v81
	;; [unrolled: 1-line block ×3, first 2 shown]
	v_fmamk_f16 v81, v93, 0xbb9c, v100
	v_fmac_f16_e32 v100, 0x3b9c, v93
	v_fma_f16 v101, -0.5, v95, v99
	v_sub_f16_e32 v95, v5, v3
	v_fmac_f16_e32 v99, -0.5, v94
	v_fmac_f16_e32 v49, 0x38b4, v93
	v_fmac_f16_e32 v79, 0xb8b4, v93
	;; [unrolled: 1-line block ×3, first 2 shown]
	v_sub_f16_e32 v93, v9, v1
	v_fmac_f16_e32 v100, 0xb8b4, v80
	v_fmamk_f16 v102, v95, 0x3b9c, v99
	v_sub_f16_sdwa v96, v5, v9 dst_sel:DWORD dst_unused:UNUSED_PAD src0_sel:WORD_1 src1_sel:WORD_1
	v_sub_f16_sdwa v103, v3, v1 dst_sel:DWORD dst_unused:UNUSED_PAD src0_sel:WORD_1 src1_sel:WORD_1
	v_fmac_f16_e32 v99, 0xbb9c, v95
	v_pk_add_f16 v22, v38, v22
	v_pk_add_f16 v15, v36, v15
	v_fmac_f16_e32 v81, 0x34f2, v92
	v_fmamk_f16 v80, v93, 0xbb9c, v101
	v_sub_f16_sdwa v94, v9, v5 dst_sel:DWORD dst_unused:UNUSED_PAD src0_sel:WORD_1 src1_sel:WORD_1
	v_sub_f16_sdwa v154, v1, v3 dst_sel:DWORD dst_unused:UNUSED_PAD src0_sel:WORD_1 src1_sel:WORD_1
	v_fmac_f16_e32 v102, 0xb8b4, v93
	v_add_f16_e32 v96, v96, v103
	v_fmac_f16_e32 v101, 0x3b9c, v93
	v_fmac_f16_e32 v99, 0x38b4, v93
	;; [unrolled: 1-line block ×3, first 2 shown]
	v_pk_add_f16 v22, v22, v26
	v_pk_add_f16 v13, v15, v13
	v_fmac_f16_e32 v49, 0x34f2, v82
	v_fmac_f16_e32 v80, 0xb8b4, v95
	v_add_f16_e32 v94, v94, v154
	v_fmac_f16_e32 v102, 0x34f2, v96
	v_fmac_f16_e32 v101, 0x38b4, v95
	;; [unrolled: 1-line block ×3, first 2 shown]
	v_mul_f16_e32 v95, 0x34f2, v100
	v_mul_f16_e32 v96, 0xbb9c, v81
	v_pk_add_f16 v22, v22, v24
	v_pk_add_f16 v11, v13, v11
	v_fmac_f16_e32 v80, 0x34f2, v94
	v_mul_f16_e32 v92, 0x3a79, v49
	v_mul_f16_e32 v93, 0x3b9c, v102
	v_fmac_f16_e32 v101, 0x34f2, v94
	v_fma_f16 v94, v99, 0x3b9c, -v95
	v_mul_f16_e32 v95, 0xb8b4, v49
	v_mul_f16_e32 v49, 0x34f2, v99
	v_fmac_f16_e32 v96, 0x34f2, v102
	v_pk_add_f16 v102, v22, v11
	v_pk_add_f16 v24, v22, v11 neg_lo:[0,1] neg_hi:[0,1]
	v_pk_add_f16 v11, v39, v23
	v_pk_add_f16 v13, v37, v20
	v_add_co_u32 v48, s2, v147, 60
	v_fma_f16 v100, v100, 0xbb9c, -v49
	v_mul_lo_u16 v15, v147, 10
	v_mov_b32_e32 v49, 2
	v_pk_add_f16 v11, v11, v27
	v_pk_add_f16 v13, v13, v18
	v_fmac_f16_e32 v79, 0x34f2, v82
	v_pack_b32_f16 v103, v42, v55
	v_lshlrev_b32_sdwa v164, v49, v15 dst_sel:DWORD dst_unused:UNUSED_PAD src0_sel:DWORD src1_sel:WORD_0
	v_pack_b32_f16 v36, v43, v56
	v_pack_b32_f16 v35, v35, v54
	v_mul_u32_u24_e32 v15, 10, v48
	v_pk_add_f16 v11, v11, v25
	v_pk_add_f16 v13, v13, v16
	v_pack_b32_f16 v37, v46, v52
	v_pack_b32_f16 v38, v47, v53
	;; [unrolled: 1-line block ×3, first 2 shown]
	v_pk_add_f16 v14, v34, v14
	v_pk_add_f16 v18, v104, v21
	v_pack_b32_f16 v27, v50, v57
	v_pack_b32_f16 v26, v44, v51
	v_add_co_ci_u32_e64 v40, null, 0, 0, s2
	v_add_co_u32 v40, null, 0x78, v147
	v_fmac_f16_e32 v93, 0x34f2, v81
	v_mul_f16_e32 v82, 0x3a79, v79
	v_mul_f16_e32 v81, 0x3a79, v101
	s_barrier
	buffer_gl0_inv
	ds_write2_b64 v164, v[102:103], v[35:36] offset1:1
	ds_write2_b64 v164, v[23:24], v[37:38] offset0:2 offset1:3
	ds_write_b64 v164, v[26:27] offset:32
	v_lshlrev_b32_e32 v165, 2, v15
	v_pk_add_f16 v15, v11, v13
	v_pack_b32_f16 v16, v58, v84
	v_pack_b32_f16 v23, v60, v85
	;; [unrolled: 1-line block ×3, first 2 shown]
	v_pk_add_f16 v13, v11, v13 neg_lo:[0,1] neg_hi:[0,1]
	v_pk_add_f16 v11, v14, v12
	v_pk_add_f16 v14, v18, v19
	v_add_co_u32 v41, null, 0xb4, v147
	v_fmac_f16_e32 v92, 0x38b4, v80
	v_fma_f16 v99, v101, 0x38b4, -v82
	v_fmac_f16_e32 v95, 0x3a79, v80
	v_fma_f16 v101, v79, 0xb8b4, -v81
	v_pack_b32_f16 v20, v64, v66
	v_pack_b32_f16 v21, v65, v67
	;; [unrolled: 1-line block ×3, first 2 shown]
	ds_write2_b64 v165, v[15:16], v[22:23] offset1:1
	v_mul_u32_u24_e32 v15, 10, v40
	v_pk_add_f16 v16, v11, v10
	v_pk_add_f16 v17, v14, v17
	v_sub_f16_e32 v81, v31, v92
	v_sub_f16_e32 v82, v87, v93
	;; [unrolled: 1-line block ×8, first 2 shown]
	ds_write2_b64 v165, v[12:13], v[20:21] offset0:2 offset1:3
	v_pack_b32_f16 v11, v62, v86
	v_pack_b32_f16 v10, v59, v63
	v_lshlrev_b32_e32 v166, 2, v15
	v_pack_b32_f16 v20, v115, v153
	v_mul_u32_u24_e32 v153, 10, v41
	v_pk_add_f16 v12, v16, v17
	v_pack_b32_f16 v13, v105, v109
	v_pack_b32_f16 v15, v107, v111
	;; [unrolled: 1-line block ×3, first 2 shown]
	v_pk_add_f16 v17, v16, v17 neg_lo:[0,1] neg_hi:[0,1]
	v_pack_b32_f16 v18, v113, v117
	v_pack_b32_f16 v19, v114, v118
	;; [unrolled: 1-line block ×4, first 2 shown]
	ds_write_b64 v165, v[10:11] offset:32
	ds_write2_b64 v166, v[12:13], v[14:15] offset1:1
	ds_write2_b64 v166, v[16:17], v[18:19] offset0:2 offset1:3
	ds_write_b64 v166, v[20:21] offset:32
	s_and_saveexec_b32 s2, vcc_lo
	s_cbranch_execz .LBB0_7
; %bb.6:
	v_pk_add_f16 v6, v6, v8
	v_pk_add_f16 v7, v7, v9
	v_add_f16_e32 v9, v89, v100
	v_add_f16_e32 v11, v31, v92
	;; [unrolled: 1-line block ×3, first 2 shown]
	v_pk_add_f16 v4, v6, v4
	v_pk_add_f16 v5, v7, v5
	v_add_f16_e32 v6, v91, v96
	v_add_f16_e32 v7, v88, v95
	;; [unrolled: 1-line block ×3, first 2 shown]
	v_pk_add_f16 v2, v4, v2
	v_pk_add_f16 v3, v5, v3
	v_add_f16_e32 v4, v32, v94
	v_add_f16_e32 v5, v87, v93
	v_lshlrev_b32_e32 v14, 2, v153
	v_pk_add_f16 v12, v2, v0
	v_pk_add_f16 v13, v3, v1
	v_pack_b32_f16 v1, v4, v9
	v_pack_b32_f16 v0, v5, v6
	;; [unrolled: 1-line block ×3, first 2 shown]
	v_perm_b32 v7, v156, v82, 0x5040100
	v_pk_add_f16 v2, v12, v13
	v_pk_add_f16 v5, v12, v13 neg_lo:[0,1] neg_hi:[0,1]
	v_perm_b32 v6, v154, v81, 0x5040100
	v_pack_b32_f16 v4, v10, v8
	v_perm_b32 v9, v157, v80, 0x5040100
	v_perm_b32 v8, v155, v79, 0x5040100
	ds_write2_b64 v14, v[2:3], v[0:1] offset1:1
	ds_write2_b64 v14, v[4:5], v[6:7] offset0:2 offset1:3
	ds_write_b64 v14, v[8:9] offset:32
.LBB0_7:
	s_or_b32 exec_lo, exec_lo, s2
	v_and_b32_e32 v0, 0xff, v147
	v_and_b32_e32 v1, 0xff, v48
	;; [unrolled: 1-line block ×4, first 2 shown]
	v_add_nc_u32_e32 v30, 0xf0, v147
	v_mul_lo_u16 v0, 0xcd, v0
	v_mov_b32_e32 v4, 0xcccd
	v_add_nc_u32_e32 v32, 0x12c, v147
	v_mul_lo_u16 v3, 0xcd, v33
	s_waitcnt lgkmcnt(0)
	v_lshrrev_b16 v34, 11, v0
	v_mul_lo_u16 v0, 0xcd, v1
	v_mul_u32_u24_sdwa v5, v30, v4 dst_sel:DWORD dst_unused:UNUSED_PAD src0_sel:WORD_0 src1_sel:DWORD
	v_lshrrev_b16 v38, 11, v3
	v_mul_u32_u24_sdwa v4, v32, v4 dst_sel:DWORD dst_unused:UNUSED_PAD src0_sel:WORD_0 src1_sel:DWORD
	v_mul_lo_u16 v1, v34, 10
	v_lshrrev_b16 v35, 11, v0
	v_lshrrev_b32_e32 v36, 19, v5
	s_barrier
	v_lshrrev_b32_e32 v39, 19, v4
	v_sub_nc_u16 v0, v147, v1
	v_mul_lo_u16 v1, 0xcd, v31
	v_mul_lo_u16 v2, v35, 10
	v_mul_lo_u16 v7, v36, 10
	buffer_gl0_inv
	v_and_b32_e32 v42, 0xff, v0
	v_lshrrev_b16 v37, 11, v1
	v_sub_nc_u16 v2, v48, v2
	v_sub_nc_u16 v45, v30, v7
	v_mul_lo_u16 v4, v39, 10
	v_mad_u64_u32 v[0:1], null, v42, 20, s[0:1]
	v_mul_lo_u16 v6, v37, 10
	v_and_b32_e32 v43, 0xff, v2
	v_sub_nc_u16 v44, v32, v4
	v_add_nc_u32_e32 v100, 0x400, v119
	v_add_nc_u32_e32 v107, 0xa00, v119
	v_sub_nc_u16 v5, v40, v6
	v_mad_u64_u32 v[2:3], null, v43, 20, s[0:1]
	v_mul_lo_u16 v6, v38, 10
	s_clause 0x1
	global_load_dwordx4 v[16:19], v[0:1], off
	global_load_dword v163, v[0:1], off offset:16
	v_and_b32_e32 v47, 0xff, v5
	v_add_nc_u32_e32 v99, 0x1000, v119
	v_sub_nc_u16 v5, v41, v6
	s_clause 0x1
	global_load_dword v162, v[2:3], off offset:16
	global_load_dwordx4 v[20:23], v[2:3], off
	v_mad_u64_u32 v[0:1], null, v47, 20, s[0:1]
	v_and_b32_e32 v46, 0xff, v5
	v_mul_lo_u16 v5, v45, 20
	v_add_nc_u32_e32 v105, 0x1400, v119
	v_add_nc_u32_e32 v108, 0x1c00, v119
	;; [unrolled: 1-line block ×4, first 2 shown]
	global_load_dwordx4 v[12:15], v[0:1], off
	v_mad_u64_u32 v[2:3], null, v46, 20, s[0:1]
	v_and_b32_e32 v4, 0xffff, v5
	v_mul_lo_u16 v5, v44, 20
	s_clause 0x2
	global_load_dwordx4 v[8:11], v[2:3], off
	global_load_dword v161, v[0:1], off offset:16
	global_load_dword v160, v[2:3], off offset:16
	v_and_b32_e32 v2, 0xffff, v5
	v_add_co_u32 v0, s2, s0, v4
	v_add_co_ci_u32_e64 v1, null, s1, 0, s2
	v_add_co_u32 v24, s2, s0, v2
	v_add_co_ci_u32_e64 v25, null, s1, 0, s2
	s_clause 0x3
	global_load_dwordx4 v[4:7], v[0:1], off
	global_load_dword v159, v[0:1], off offset:16
	global_load_dwordx4 v[0:3], v[24:25], off
	global_load_dword v158, v[24:25], off offset:16
	ds_read2_b32 v[28:29], v119 offset1:60
	ds_read2_b32 v[26:27], v119 offset0:120 offset1:180
	v_add_nc_u32_e32 v188, 0x1800, v119
	v_add_nc_u32_e32 v104, 0x200, v119
	;; [unrolled: 1-line block ×4, first 2 shown]
	ds_read2_b32 v[83:84], v100 offset0:104 offset1:164
	ds_read2_b32 v[85:86], v107 offset0:80 offset1:140
	;; [unrolled: 1-line block ×16, first 2 shown]
	s_waitcnt vmcnt(0) lgkmcnt(0)
	s_barrier
	buffer_gl0_inv
	v_lshrrev_b32_e32 v59, 16, v83
	v_lshrrev_b32_e32 v63, 16, v85
	;; [unrolled: 1-line block ×36, first 2 shown]
	v_mul_f16_sdwa v203, v63, v17 dst_sel:DWORD dst_unused:UNUSED_PAD src0_sel:DWORD src1_sel:WORD_1
	v_mul_f16_sdwa v204, v85, v17 dst_sel:DWORD dst_unused:UNUSED_PAD src0_sel:DWORD src1_sel:WORD_1
	;; [unrolled: 1-line block ×26, first 2 shown]
	v_fma_f16 v85, v85, v17, -v203
	v_fma_f16 v87, v87, v18, -v205
	;; [unrolled: 1-line block ×4, first 2 shown]
	v_fmac_f16_e32 v204, v63, v17
	v_fmac_f16_e32 v206, v67, v18
	;; [unrolled: 1-line block ×6, first 2 shown]
	v_mul_f16_sdwa v247, v196, v0 dst_sel:DWORD dst_unused:UNUSED_PAD src0_sel:DWORD src1_sel:WORD_1
	v_mul_f16_sdwa v248, v197, v1 dst_sel:DWORD dst_unused:UNUSED_PAD src0_sel:DWORD src1_sel:WORD_1
	;; [unrolled: 1-line block ×24, first 2 shown]
	v_fma_f16 v83, v83, v16, -v201
	v_fma_f16 v84, v84, v20, -v211
	;; [unrolled: 1-line block ×9, first 2 shown]
	v_fmac_f16_e32 v202, v59, v16
	v_fmac_f16_e32 v212, v174, v20
	;; [unrolled: 1-line block ×7, first 2 shown]
	v_fma_f16 v59, v116, v0, -v247
	v_fma_f16 v116, v118, v1, -v248
	v_fma_f16 v118, v170, v3, -v250
	v_add_f16_e32 v170, v85, v89
	v_add_f16_e32 v173, v204, v208
	;; [unrolled: 1-line block ×5, first 2 shown]
	v_mul_f16_sdwa v229, v184, v8 dst_sel:DWORD dst_unused:UNUSED_PAD src0_sel:DWORD src1_sel:WORD_1
	v_mul_f16_sdwa v231, v185, v9 dst_sel:DWORD dst_unused:UNUSED_PAD src0_sel:DWORD src1_sel:WORD_1
	;; [unrolled: 1-line block ×9, first 2 shown]
	v_fma_f16 v111, v111, v15, -v227
	v_fma_f16 v113, v113, v161, -v230
	v_fmac_f16_e32 v222, v179, v12
	v_fmac_f16_e32 v224, v180, v13
	v_fmac_f16_e32 v228, v182, v15
	v_fmac_f16_e32 v232, v184, v8
	v_fmac_f16_e32 v234, v185, v9
	v_fmac_f16_e32 v238, v187, v11
	v_fmac_f16_e32 v58, v191, v4
	v_fma_f16 v106, v115, v4, -v241
	v_fma_f16 v115, v117, v5, -v242
	v_fma_f16 v117, v167, v6, -v244
	v_fma_f16 v167, v169, v7, -v245
	v_fma_f16 v169, v171, v159, -v246
	v_fmac_f16_e32 v53, v196, v0
	v_fma_f16 v67, v168, v2, -v249
	v_fma_f16 v63, v172, v158, -v251
	v_fmac_f16_e32 v54, v200, v158
	v_add_f16_e32 v168, v28, v85
	v_sub_f16_e32 v171, v204, v208
	v_add_f16_e32 v172, v66, v204
	v_sub_f16_e32 v85, v85, v89
	;; [unrolled: 2-line block ×4, first 2 shown]
	v_add_f16_e32 v179, v29, v86
	v_add_f16_e32 v180, v86, v90
	;; [unrolled: 1-line block ×6, first 2 shown]
	v_sub_f16_e32 v88, v88, v92
	v_add_f16_e32 v191, v26, v95
	v_add_f16_e32 v196, v93, v109
	;; [unrolled: 1-line block ×3, first 2 shown]
	v_fmac_f16_e32 v66, -0.5, v173
	v_fmac_f16_e32 v83, -0.5, v175
	v_fma_f16 v28, -0.5, v170, v28
	v_fmac_f16_e32 v202, -0.5, v178
	v_fmac_f16_e32 v212, -0.5, v190
	v_mul_f16_sdwa v233, v186, v10 dst_sel:DWORD dst_unused:UNUSED_PAD src0_sel:DWORD src1_sel:WORD_1
	v_fmac_f16_e32 v236, v186, v10
	v_fmac_f16_e32 v243, v192, v5
	;; [unrolled: 1-line block ×6, first 2 shown]
	v_sub_f16_e32 v181, v214, v218
	v_add_f16_e32 v182, v62, v214
	v_sub_f16_e32 v86, v86, v90
	v_sub_f16_e32 v186, v216, v220
	v_add_f16_e32 v192, v95, v111
	v_add_f16_e32 v194, v60, v224
	;; [unrolled: 1-line block ×3, first 2 shown]
	v_sub_f16_e32 v95, v95, v111
	v_add_f16_e32 v197, v109, v113
	v_add_f16_e32 v199, v222, v226
	v_sub_f16_e32 v109, v109, v113
	v_add_f16_e32 v89, v168, v89
	v_add_f16_e32 v168, v172, v208
	;; [unrolled: 1-line block ×5, first 2 shown]
	v_fmac_f16_e32 v29, -0.5, v180
	v_fmac_f16_e32 v62, -0.5, v183
	;; [unrolled: 1-line block ×3, first 2 shown]
	v_add_f16_e32 v111, v191, v111
	v_add_f16_e32 v113, v196, v113
	v_fmac_f16_e32 v222, -0.5, v200
	v_fmamk_f16 v177, v171, 0x3aee, v28
	v_fmac_f16_e32 v28, 0xbaee, v171
	v_fmamk_f16 v171, v85, 0xbaee, v66
	v_fmac_f16_e32 v66, 0x3aee, v85
	;; [unrolled: 2-line block ×3, first 2 shown]
	v_fmamk_f16 v176, v87, 0xbaee, v202
	v_fmamk_f16 v179, v88, 0xbaee, v212
	v_fmac_f16_e32 v212, 0x3aee, v88
	v_fma_f16 v96, v96, v9, -v231
	v_fmac_f16_e32 v55, v198, v2
	v_sub_f16_e32 v198, v226, v239
	v_add_f16_e32 v172, v182, v218
	v_add_f16_e32 v92, v184, v92
	;; [unrolled: 1-line block ×4, first 2 shown]
	v_fmac_f16_e32 v60, -0.5, v195
	v_fmac_f16_e32 v93, -0.5, v197
	v_add_f16_e32 v175, v199, v239
	v_fmac_f16_e32 v202, 0x3aee, v87
	v_add_f16_e32 v87, v89, v91
	v_add_f16_e32 v178, v168, v170
	v_sub_f16_e32 v89, v89, v91
	v_sub_f16_e32 v91, v168, v170
	v_fmamk_f16 v168, v181, 0x3aee, v29
	v_fmac_f16_e32 v29, 0xbaee, v181
	v_fmamk_f16 v170, v86, 0xbaee, v62
	v_fmac_f16_e32 v62, 0x3aee, v86
	v_fmamk_f16 v86, v186, 0x3aee, v84
	v_fmac_f16_e32 v84, 0xbaee, v186
	v_fmamk_f16 v181, v109, 0xbaee, v222
	v_fmac_f16_e32 v222, 0x3aee, v109
	v_add_f16_e32 v109, v111, v113
	v_sub_f16_e32 v111, v111, v113
	v_mul_f16_e32 v113, 0x3aee, v176
	v_mul_f16_e32 v186, 0x3aee, v179
	v_mul_f16_e32 v191, -0.5, v212
	v_fma_f16 v110, v110, v10, -v233
	v_fma_f16 v112, v112, v11, -v235
	;; [unrolled: 1-line block ×3, first 2 shown]
	v_fmac_f16_e32 v64, v193, v6
	v_sub_f16_e32 v193, v224, v228
	v_fma_f16 v26, -0.5, v192, v26
	v_add_f16_e32 v88, v90, v92
	v_add_f16_e32 v180, v172, v173
	v_sub_f16_e32 v90, v90, v92
	v_sub_f16_e32 v92, v172, v173
	v_fmamk_f16 v173, v95, 0xbaee, v60
	v_fmac_f16_e32 v60, 0x3aee, v95
	v_fmamk_f16 v95, v198, 0x3aee, v93
	v_fmac_f16_e32 v93, 0xbaee, v198
	v_add_f16_e32 v182, v174, v175
	v_mul_f16_e32 v185, -0.5, v202
	v_mul_f16_e32 v190, 0xbaee, v86
	v_mul_f16_e32 v192, 0x3aee, v181
	v_mul_f16_e32 v195, -0.5, v222
	v_fmac_f16_e32 v113, 0.5, v85
	v_fmac_f16_e32 v186, 0.5, v86
	v_fmac_f16_e32 v191, 0xbaee, v84
	v_sub_f16_e32 v174, v174, v175
	v_add_f16_e32 v175, v27, v96
	v_fma_f16 v94, v94, v8, -v229
	v_fmamk_f16 v172, v193, 0x3aee, v26
	v_fmac_f16_e32 v26, 0xbaee, v193
	v_mul_f16_e32 v183, -0.5, v83
	v_mul_f16_e32 v184, 0xbaee, v85
	v_mul_f16_e32 v193, -0.5, v93
	v_mul_f16_e32 v194, 0xbaee, v95
	v_fmac_f16_e32 v185, 0xbaee, v83
	v_fmac_f16_e32 v190, 0.5, v179
	v_fmac_f16_e32 v192, 0.5, v95
	v_fmac_f16_e32 v195, 0xbaee, v93
	v_add_f16_e32 v83, v177, v113
	v_sub_f16_e32 v93, v177, v113
	v_add_f16_e32 v113, v168, v186
	v_add_f16_e32 v177, v62, v191
	v_sub_f16_e32 v179, v168, v186
	v_sub_f16_e32 v62, v62, v191
	v_add_f16_e32 v168, v96, v112
	v_add_f16_e32 v186, v234, v238
	;; [unrolled: 1-line block ×4, first 2 shown]
	v_sub_f16_e32 v96, v96, v112
	v_add_f16_e32 v112, v236, v240
	v_mul_f16_e32 v187, -0.5, v84
	v_fmac_f16_e32 v183, 0x3aee, v202
	v_fmac_f16_e32 v184, 0.5, v176
	v_fmac_f16_e32 v193, 0x3aee, v222
	v_fmac_f16_e32 v194, 0.5, v181
	v_add_f16_e32 v176, v170, v190
	v_sub_f16_e32 v170, v170, v190
	v_add_f16_e32 v181, v172, v192
	v_sub_f16_e32 v172, v172, v192
	v_add_f16_e32 v190, v52, v234
	v_fmac_f16_e32 v52, -0.5, v186
	v_add_f16_e32 v186, v94, v110
	v_fmac_f16_e32 v94, -0.5, v191
	v_sub_f16_e32 v191, v236, v240
	v_add_f16_e32 v192, v232, v236
	v_fmac_f16_e32 v232, -0.5, v112
	v_sub_f16_e32 v110, v110, v114
	v_fmac_f16_e32 v187, 0x3aee, v212
	v_add_f16_e32 v84, v28, v183
	v_sub_f16_e32 v28, v28, v183
	v_add_f16_e32 v183, v26, v193
	v_sub_f16_e32 v26, v26, v193
	v_fmac_f16_e32 v27, -0.5, v168
	v_sub_f16_e32 v168, v234, v238
	v_add_f16_e32 v112, v190, v238
	v_fmamk_f16 v190, v191, 0x3aee, v94
	v_fmamk_f16 v193, v110, 0xbaee, v232
	v_fmac_f16_e32 v94, 0xbaee, v191
	v_fmac_f16_e32 v232, 0x3aee, v110
	v_add_f16_e32 v85, v171, v184
	v_sub_f16_e32 v95, v171, v184
	v_add_f16_e32 v171, v29, v187
	v_sub_f16_e32 v29, v29, v187
	v_fmamk_f16 v187, v168, 0x3aee, v27
	v_fmac_f16_e32 v27, 0xbaee, v168
	v_fmamk_f16 v168, v96, 0xbaee, v52
	v_fmac_f16_e32 v52, 0x3aee, v96
	v_add_f16_e32 v96, v186, v114
	v_mul_f16_e32 v114, -0.5, v94
	v_add_f16_e32 v186, v192, v240
	v_mul_f16_e32 v191, 0xbaee, v190
	v_mul_f16_e32 v192, -0.5, v232
	v_mul_f16_e32 v110, 0x3aee, v193
	v_fmac_f16_e32 v114, 0x3aee, v232
	v_add_f16_e32 v86, v66, v185
	v_fmac_f16_e32 v191, 0.5, v193
	v_fmac_f16_e32 v192, 0xbaee, v94
	v_sub_f16_e32 v66, v66, v185
	v_add_f16_e32 v184, v173, v194
	v_add_f16_e32 v185, v60, v195
	v_sub_f16_e32 v173, v173, v194
	v_sub_f16_e32 v60, v60, v195
	v_fmac_f16_e32 v110, 0.5, v190
	v_add_f16_e32 v190, v175, v96
	v_add_f16_e32 v193, v27, v114
	;; [unrolled: 1-line block ×5, first 2 shown]
	v_sub_f16_e32 v96, v175, v96
	v_add_f16_e32 v175, v115, v167
	v_sub_f16_e32 v27, v27, v114
	v_sub_f16_e32 v112, v112, v186
	v_add_f16_e32 v114, v24, v115
	v_sub_f16_e32 v186, v168, v191
	v_sub_f16_e32 v52, v52, v192
	v_add_f16_e32 v168, v243, v65
	v_add_f16_e32 v192, v117, v169
	v_fma_f16 v24, -0.5, v175, v24
	v_sub_f16_e32 v175, v243, v65
	v_add_f16_e32 v114, v114, v167
	v_add_f16_e32 v191, v51, v243
	v_fmac_f16_e32 v51, -0.5, v168
	v_sub_f16_e32 v115, v115, v167
	v_add_f16_e32 v167, v64, v61
	v_add_f16_e32 v168, v106, v117
	v_fmac_f16_e32 v106, -0.5, v192
	v_sub_f16_e32 v192, v64, v61
	v_add_f16_e32 v94, v187, v110
	v_sub_f16_e32 v110, v187, v110
	v_fmamk_f16 v187, v175, 0x3aee, v24
	v_add_f16_e32 v64, v58, v64
	v_fmac_f16_e32 v58, -0.5, v167
	v_sub_f16_e32 v117, v117, v169
	v_fmac_f16_e32 v24, 0xbaee, v175
	v_fmamk_f16 v175, v192, 0x3aee, v106
	v_add_f16_e32 v65, v191, v65
	v_fmac_f16_e32 v106, 0xbaee, v192
	v_fmamk_f16 v191, v117, 0xbaee, v58
	v_add_f16_e32 v61, v64, v61
	v_mul_f16_e32 v64, 0xbaee, v175
	v_fmamk_f16 v167, v115, 0xbaee, v51
	v_fmac_f16_e32 v51, 0x3aee, v115
	v_add_f16_e32 v115, v168, v169
	v_fmac_f16_e32 v58, 0x3aee, v117
	v_mul_f16_e32 v168, -0.5, v106
	v_fmac_f16_e32 v64, 0.5, v191
	v_mul_f16_e32 v117, 0x3aee, v191
	v_add_f16_e32 v191, v65, v61
	v_mul_f16_e32 v169, -0.5, v58
	v_fmac_f16_e32 v168, 0x3aee, v58
	v_add_f16_e32 v58, v114, v115
	v_add_f16_e32 v192, v167, v64
	v_sub_f16_e32 v114, v114, v115
	v_add_f16_e32 v115, v116, v118
	v_sub_f16_e32 v64, v167, v64
	v_add_f16_e32 v167, v57, v56
	v_fmac_f16_e32 v117, 0.5, v175
	v_fmac_f16_e32 v169, 0xbaee, v106
	v_sub_f16_e32 v61, v65, v61
	v_add_f16_e32 v65, v25, v116
	v_fmac_f16_e32 v25, -0.5, v115
	v_sub_f16_e32 v115, v57, v56
	v_add_f16_e32 v57, v50, v57
	v_fmac_f16_e32 v50, -0.5, v167
	v_add_f16_e32 v167, v55, v54
	v_add_f16_e32 v106, v187, v117
	;; [unrolled: 1-line block ×3, first 2 shown]
	v_sub_f16_e32 v117, v187, v117
	v_sub_f16_e32 v51, v51, v169
	v_add_f16_e32 v65, v65, v118
	v_sub_f16_e32 v116, v116, v118
	v_add_f16_e32 v118, v67, v63
	v_add_f16_e32 v169, v59, v67
	;; [unrolled: 1-line block ×3, first 2 shown]
	v_fmac_f16_e32 v53, -0.5, v167
	v_sub_f16_e32 v67, v67, v63
	v_fmac_f16_e32 v59, -0.5, v118
	v_sub_f16_e32 v55, v55, v54
	v_add_f16_e32 v56, v57, v56
	v_add_f16_e32 v175, v24, v168
	v_fmamk_f16 v57, v67, 0xbaee, v53
	v_fmac_f16_e32 v53, 0x3aee, v67
	v_fmamk_f16 v118, v55, 0x3aee, v59
	v_fmac_f16_e32 v59, 0xbaee, v55
	v_sub_f16_e32 v24, v24, v168
	v_mul_f16_e32 v55, 0x3aee, v57
	v_fmamk_f16 v168, v115, 0x3aee, v25
	v_fmac_f16_e32 v25, 0xbaee, v115
	v_fmamk_f16 v115, v116, 0xbaee, v50
	v_fmac_f16_e32 v50, 0x3aee, v116
	v_fmac_f16_e32 v55, 0.5, v118
	v_mul_f16_e32 v116, 0xbaee, v118
	v_mul_f16_e32 v118, -0.5, v53
	v_mul_f16_e32 v67, -0.5, v59
	v_add_f16_e32 v63, v169, v63
	v_add_f16_e32 v167, v168, v55
	v_sub_f16_e32 v55, v168, v55
	v_fmac_f16_e32 v118, 0xbaee, v59
	v_mov_b32_e32 v59, 60
	v_fmac_f16_e32 v67, 0x3aee, v53
	v_add_f16_e32 v53, v65, v63
	v_sub_f16_e32 v63, v65, v63
	v_pack_b32_f16 v65, v93, v95
	v_mul_u32_u24_sdwa v34, v34, v59 dst_sel:DWORD dst_unused:UNUSED_PAD src0_sel:WORD_0 src1_sel:DWORD
	v_pack_b32_f16 v28, v28, v66
	v_fmac_f16_e32 v116, 0.5, v57
	v_add_f16_e32 v57, v25, v67
	v_sub_f16_e32 v25, v25, v67
	v_add_lshl_u32 v168, v34, v42, 2
	v_pack_b32_f16 v34, v87, v178
	v_pack_b32_f16 v42, v83, v85
	;; [unrolled: 1-line block ×6, first 2 shown]
	ds_write2_b32 v168, v34, v42 offset1:10
	v_mul_u32_u24_sdwa v34, v35, v59 dst_sel:DWORD dst_unused:UNUSED_PAD src0_sel:WORD_0 src1_sel:DWORD
	v_pack_b32_f16 v35, v84, v86
	v_pack_b32_f16 v42, v89, v91
	ds_write2_b32 v168, v35, v42 offset0:20 offset1:30
	ds_write2_b32 v168, v65, v28 offset0:40 offset1:50
	v_add_lshl_u32 v169, v34, v43, 2
	v_pack_b32_f16 v34, v88, v180
	v_pack_b32_f16 v43, v113, v176
	v_mul_u32_u24_sdwa v28, v37, v59 dst_sel:DWORD dst_unused:UNUSED_PAD src0_sel:WORD_0 src1_sel:DWORD
	v_mul_u32_u24_sdwa v37, v38, v59 dst_sel:DWORD dst_unused:UNUSED_PAD src0_sel:WORD_0 src1_sel:DWORD
	ds_write2_b32 v169, v34, v43 offset1:10
	ds_write2_b32 v169, v66, v67 offset0:20 offset1:30
	v_pack_b32_f16 v34, v179, v170
	v_add_lshl_u32 v170, v28, v47, 2
	v_pack_b32_f16 v28, v109, v182
	v_pack_b32_f16 v35, v181, v184
	;; [unrolled: 1-line block ×5, first 2 shown]
	v_add_lshl_u32 v172, v37, v46, 2
	v_pack_b32_f16 v37, v190, v194
	v_pack_b32_f16 v46, v94, v195
	ds_write2_b32 v169, v34, v29 offset0:40 offset1:50
	ds_write2_b32 v170, v28, v35 offset1:10
	ds_write2_b32 v170, v38, v42 offset0:20 offset1:30
	ds_write2_b32 v170, v43, v26 offset0:40 offset1:50
	ds_write2_b32 v172, v37, v46 offset1:10
	v_mad_u16 v26, v36, 60, v45
	v_add_f16_e32 v54, v187, v54
	v_pack_b32_f16 v28, v193, v196
	v_pack_b32_f16 v29, v96, v112
	;; [unrolled: 1-line block ×4, first 2 shown]
	v_lshlrev_b32_sdwa v173, v49, v26 dst_sel:DWORD dst_unused:UNUSED_PAD src0_sel:DWORD src1_sel:WORD_0
	v_pack_b32_f16 v26, v58, v191
	v_pack_b32_f16 v35, v106, v192
	v_add_f16_e32 v187, v56, v54
	v_add_f16_e32 v198, v115, v116
	v_pack_b32_f16 v36, v175, v197
	v_pack_b32_f16 v37, v114, v61
	ds_write2_b32 v172, v28, v29 offset0:20 offset1:30
	ds_write2_b32 v172, v34, v27 offset0:40 offset1:50
	v_mad_u16 v27, v39, 60, v44
	v_add_f16_e32 v199, v50, v118
	v_sub_f16_e32 v54, v56, v54
	v_sub_f16_e32 v56, v115, v116
	;; [unrolled: 1-line block ×3, first 2 shown]
	ds_write2_b32 v173, v26, v35 offset1:10
	ds_write2_b32 v173, v36, v37 offset0:20 offset1:30
	v_pack_b32_f16 v26, v117, v64
	v_pack_b32_f16 v24, v24, v51
	v_lshlrev_b32_sdwa v175, v49, v27 dst_sel:DWORD dst_unused:UNUSED_PAD src0_sel:DWORD src1_sel:WORD_0
	v_pack_b32_f16 v27, v53, v187
	v_pack_b32_f16 v28, v167, v198
	;; [unrolled: 1-line block ×6, first 2 shown]
	ds_write2_b32 v173, v26, v24 offset0:40 offset1:50
	ds_write2_b32 v175, v27, v28 offset1:10
	ds_write2_b32 v175, v29, v34 offset0:20 offset1:30
	ds_write2_b32 v175, v35, v25 offset0:40 offset1:50
	v_mul_lo_u16 v28, 0x89, v31
	v_mul_lo_u16 v29, 0x89, v33
	v_mad_u64_u32 v[44:45], null, v147, 20, s[0:1]
	v_mov_b32_e32 v35, 0x8889
	v_lshrrev_b16 v28, 13, v28
	v_lshrrev_b16 v29, 13, v29
	s_waitcnt lgkmcnt(0)
	s_barrier
	buffer_gl0_inv
	v_mul_lo_u16 v28, v28, 60
	v_mul_lo_u16 v31, v29, 60
	s_clause 0x1
	global_load_dwordx4 v[24:27], v[44:45], off offset:200
	global_load_dword v167, v[44:45], off offset:216
	v_sub_nc_u16 v28, v40, v28
	v_sub_nc_u16 v31, v41, v31
	v_and_b32_e32 v50, 0xff, v28
	v_and_b32_e32 v51, 0xff, v31
	v_mul_u32_u24_sdwa v31, v30, v35 dst_sel:DWORD dst_unused:UNUSED_PAD src0_sel:WORD_0 src1_sel:DWORD
	v_mul_u32_u24_sdwa v35, v32, v35 dst_sel:DWORD dst_unused:UNUSED_PAD src0_sel:WORD_0 src1_sel:DWORD
	v_mad_u64_u32 v[28:29], null, v50, 20, s[0:1]
	v_lshrrev_b32_e32 v31, 21, v31
	v_mad_u64_u32 v[33:34], null, v51, 20, s[0:1]
	v_mul_lo_u16 v31, v31, 60
	s_clause 0x1
	global_load_dwordx4 v[36:39], v[28:29], off offset:200
	global_load_dword v177, v[28:29], off offset:216
	v_lshrrev_b32_e32 v28, 21, v35
	s_clause 0x1
	global_load_dwordx4 v[40:43], v[33:34], off offset:200
	global_load_dword v176, v[33:34], off offset:216
	v_sub_nc_u16 v53, v30, v31
	v_mul_lo_u16 v28, v28, 60
	v_mul_lo_u16 v29, v53, 20
	v_sub_nc_u16 v52, v32, v28
	v_and_b32_e32 v28, 0xffff, v29
	v_mul_lo_u16 v29, v52, 20
	v_add_co_u32 v46, s2, s0, v28
	v_add_co_ci_u32_e64 v47, null, s1, 0, s2
	v_and_b32_e32 v28, 0xffff, v29
	global_load_dwordx4 v[32:35], v[46:47], off offset:200
	v_add_co_u32 v54, s2, s0, v28
	v_add_co_ci_u32_e64 v55, null, s1, 0, s2
	s_clause 0x2
	global_load_dwordx4 v[28:31], v[54:55], off offset:200
	global_load_dword v174, v[46:47], off offset:216
	global_load_dword v171, v[54:55], off offset:216
	ds_read2_b32 v[109:110], v119 offset1:60
	ds_read2_b32 v[54:55], v100 offset0:104 offset1:164
	ds_read2_b32 v[56:57], v107 offset0:80 offset1:140
	;; [unrolled: 1-line block ×16, first 2 shown]
	s_add_u32 s2, s12, 0x21c0
	s_addc_u32 s3, s13, 0
	s_waitcnt lgkmcnt(16)
	v_lshrrev_b32_e32 v113, 16, v109
	s_waitcnt lgkmcnt(15)
	v_lshrrev_b32_e32 v106, 16, v54
	;; [unrolled: 2-line block ×3, first 2 shown]
	v_lshrrev_b32_e32 v178, 16, v55
	v_lshrrev_b32_e32 v179, 16, v57
	s_waitcnt lgkmcnt(11)
	v_lshrrev_b32_e32 v117, 16, v62
	v_lshrrev_b32_e32 v115, 16, v58
	;; [unrolled: 1-line block ×6, first 2 shown]
	s_waitcnt lgkmcnt(9)
	v_lshrrev_b32_e32 v183, 16, v64
	s_waitcnt lgkmcnt(8)
	v_lshrrev_b32_e32 v184, 16, v66
	;; [unrolled: 2-line block ×4, first 2 shown]
	v_lshrrev_b32_e32 v192, 16, v84
	v_lshrrev_b32_e32 v190, 16, v65
	v_lshrrev_b32_e32 v191, 16, v67
	s_waitcnt lgkmcnt(5)
	v_lshrrev_b32_e32 v194, 16, v88
	v_lshrrev_b32_e32 v187, 16, v87
	;; [unrolled: 1-line block ×3, first 2 shown]
	s_waitcnt lgkmcnt(4)
	v_lshrrev_b32_e32 v195, 16, v89
	s_waitcnt lgkmcnt(3)
	v_lshrrev_b32_e32 v196, 16, v91
	s_waitcnt lgkmcnt(2)
	v_lshrrev_b32_e32 v197, 16, v93
	v_lshrrev_b32_e32 v200, 16, v90
	s_waitcnt lgkmcnt(1)
	v_lshrrev_b32_e32 v198, 16, v95
	v_lshrrev_b32_e32 v201, 16, v92
	;; [unrolled: 1-line block ×3, first 2 shown]
	s_waitcnt lgkmcnt(0)
	v_lshrrev_b32_e32 v199, 16, v111
	v_lshrrev_b32_e32 v203, 16, v96
	;; [unrolled: 1-line block ×4, first 2 shown]
	s_waitcnt vmcnt(9)
	v_mul_f16_sdwa v204, v106, v24 dst_sel:DWORD dst_unused:UNUSED_PAD src0_sel:DWORD src1_sel:WORD_1
	v_mul_f16_sdwa v205, v54, v24 dst_sel:DWORD dst_unused:UNUSED_PAD src0_sel:DWORD src1_sel:WORD_1
	;; [unrolled: 1-line block ×4, first 2 shown]
	s_waitcnt vmcnt(8)
	v_mul_f16_sdwa v212, v117, v167 dst_sel:DWORD dst_unused:UNUSED_PAD src0_sel:DWORD src1_sel:WORD_1
	v_mul_f16_sdwa v213, v62, v167 dst_sel:DWORD dst_unused:UNUSED_PAD src0_sel:DWORD src1_sel:WORD_1
	;; [unrolled: 1-line block ×4, first 2 shown]
	v_fmac_f16_e32 v205, v106, v24
	v_fma_f16 v106, v54, v24, -v204
	v_mul_f16_sdwa v54, v179, v25 dst_sel:DWORD dst_unused:UNUSED_PAD src0_sel:DWORD src1_sel:WORD_1
	v_mul_f16_sdwa v204, v57, v25 dst_sel:DWORD dst_unused:UNUSED_PAD src0_sel:DWORD src1_sel:WORD_1
	;; [unrolled: 1-line block ×6, first 2 shown]
	v_fmac_f16_e32 v207, v114, v25
	v_fma_f16 v114, v56, v25, -v206
	v_fmac_f16_e32 v213, v117, v167
	v_fma_f16 v117, v55, v24, -v214
	v_fma_f16 v206, v62, v167, -v212
	v_fmac_f16_e32 v215, v178, v24
	v_mul_f16_sdwa v55, v180, v26 dst_sel:DWORD dst_unused:UNUSED_PAD src0_sel:DWORD src1_sel:WORD_1
	v_fma_f16 v178, v57, v25, -v54
	v_fmac_f16_e32 v204, v179, v25
	v_mul_f16_sdwa v179, v59, v26 dst_sel:DWORD dst_unused:UNUSED_PAD src0_sel:DWORD src1_sel:WORD_1
	v_mul_f16_sdwa v54, v181, v27 dst_sel:DWORD dst_unused:UNUSED_PAD src0_sel:DWORD src1_sel:WORD_1
	;; [unrolled: 1-line block ×3, first 2 shown]
	v_fmac_f16_e32 v209, v115, v26
	v_fmac_f16_e32 v211, v116, v27
	v_fma_f16 v115, v58, v26, -v208
	v_fma_f16 v116, v60, v27, -v210
	;; [unrolled: 1-line block ×3, first 2 shown]
	v_mul_f16_sdwa v210, v61, v27 dst_sel:DWORD dst_unused:UNUSED_PAD src0_sel:DWORD src1_sel:WORD_1
	v_mul_f16_sdwa v55, v182, v167 dst_sel:DWORD dst_unused:UNUSED_PAD src0_sel:DWORD src1_sel:WORD_1
	v_fmac_f16_e32 v179, v180, v26
	v_fma_f16 v180, v61, v27, -v54
	s_waitcnt vmcnt(7)
	v_mul_f16_sdwa v54, v183, v36 dst_sel:DWORD dst_unused:UNUSED_PAD src0_sel:DWORD src1_sel:WORD_1
	v_fmac_f16_e32 v212, v182, v167
	v_mul_f16_sdwa v182, v66, v37 dst_sel:DWORD dst_unused:UNUSED_PAD src0_sel:DWORD src1_sel:WORD_1
	v_fmac_f16_e32 v210, v181, v27
	v_fma_f16 v181, v63, v167, -v55
	v_mul_f16_sdwa v55, v184, v37 dst_sel:DWORD dst_unused:UNUSED_PAD src0_sel:DWORD src1_sel:WORD_1
	v_fma_f16 v216, v64, v36, -v54
	v_fmac_f16_e32 v182, v184, v37
	v_mul_f16_sdwa v184, v85, v39 dst_sel:DWORD dst_unused:UNUSED_PAD src0_sel:DWORD src1_sel:WORD_1
	v_mul_f16_sdwa v54, v185, v38 dst_sel:DWORD dst_unused:UNUSED_PAD src0_sel:DWORD src1_sel:WORD_1
	;; [unrolled: 1-line block ×4, first 2 shown]
	s_waitcnt vmcnt(5)
	v_mul_f16_sdwa v220, v67, v41 dst_sel:DWORD dst_unused:UNUSED_PAD src0_sel:DWORD src1_sel:WORD_1
	v_fmac_f16_e32 v184, v186, v39
	v_mul_f16_sdwa v186, v65, v40 dst_sel:DWORD dst_unused:UNUSED_PAD src0_sel:DWORD src1_sel:WORD_1
	v_fma_f16 v222, v83, v38, -v54
	v_mul_f16_sdwa v54, v192, v42 dst_sel:DWORD dst_unused:UNUSED_PAD src0_sel:DWORD src1_sel:WORD_1
	v_fmac_f16_e32 v214, v183, v36
	v_mul_f16_sdwa v183, v83, v38 dst_sel:DWORD dst_unused:UNUSED_PAD src0_sel:DWORD src1_sel:WORD_1
	v_fma_f16 v217, v66, v37, -v55
	v_mul_f16_sdwa v55, v190, v40 dst_sel:DWORD dst_unused:UNUSED_PAD src0_sel:DWORD src1_sel:WORD_1
	v_mul_f16_sdwa v57, v191, v41 dst_sel:DWORD dst_unused:UNUSED_PAD src0_sel:DWORD src1_sel:WORD_1
	;; [unrolled: 1-line block ×3, first 2 shown]
	v_fmac_f16_e32 v186, v190, v40
	v_fmac_f16_e32 v220, v191, v41
	v_fma_f16 v190, v84, v42, -v54
	v_mul_f16_sdwa v191, v86, v43 dst_sel:DWORD dst_unused:UNUSED_PAD src0_sel:DWORD src1_sel:WORD_1
	s_waitcnt vmcnt(4)
	v_mul_f16_sdwa v54, v194, v176 dst_sel:DWORD dst_unused:UNUSED_PAD src0_sel:DWORD src1_sel:WORD_1
	v_fmac_f16_e32 v183, v185, v38
	v_mul_f16_sdwa v58, v187, v177 dst_sel:DWORD dst_unused:UNUSED_PAD src0_sel:DWORD src1_sel:WORD_1
	v_fma_f16 v185, v65, v40, -v55
	v_fmac_f16_e32 v218, v187, v177
	v_mul_f16_sdwa v187, v84, v42 dst_sel:DWORD dst_unused:UNUSED_PAD src0_sel:DWORD src1_sel:WORD_1
	v_mul_f16_sdwa v55, v193, v43 dst_sel:DWORD dst_unused:UNUSED_PAD src0_sel:DWORD src1_sel:WORD_1
	v_fmac_f16_e32 v191, v193, v43
	v_fma_f16 v193, v88, v176, -v54
	s_waitcnt vmcnt(3)
	v_mul_f16_sdwa v54, v195, v32 dst_sel:DWORD dst_unused:UNUSED_PAD src0_sel:DWORD src1_sel:WORD_1
	v_fma_f16 v219, v67, v41, -v57
	v_fma_f16 v224, v87, v177, -v58
	v_fmac_f16_e32 v187, v192, v42
	v_fma_f16 v192, v86, v43, -v55
	v_mul_f16_sdwa v55, v196, v33 dst_sel:DWORD dst_unused:UNUSED_PAD src0_sel:DWORD src1_sel:WORD_1
	v_fma_f16 v57, v89, v32, -v54
	s_waitcnt vmcnt(2)
	v_mul_f16_sdwa v54, v200, v28 dst_sel:DWORD dst_unused:UNUSED_PAD src0_sel:DWORD src1_sel:WORD_1
	v_mul_f16_sdwa v58, v197, v34 dst_sel:DWORD dst_unused:UNUSED_PAD src0_sel:DWORD src1_sel:WORD_1
	v_add_f16_e32 v87, v114, v116
	v_fma_f16 v223, v85, v39, -v56
	v_mul_f16_sdwa v225, v88, v176 dst_sel:DWORD dst_unused:UNUSED_PAD src0_sel:DWORD src1_sel:WORD_1
	v_mul_f16_sdwa v56, v89, v32 dst_sel:DWORD dst_unused:UNUSED_PAD src0_sel:DWORD src1_sel:WORD_1
	;; [unrolled: 1-line block ×3, first 2 shown]
	v_fma_f16 v85, v91, v33, -v55
	v_mul_f16_sdwa v59, v198, v35 dst_sel:DWORD dst_unused:UNUSED_PAD src0_sel:DWORD src1_sel:WORD_1
	v_fma_f16 v54, v90, v28, -v54
	v_mul_f16_sdwa v55, v90, v28 dst_sel:DWORD dst_unused:UNUSED_PAD src0_sel:DWORD src1_sel:WORD_1
	v_fma_f16 v83, v93, v34, -v58
	v_mul_f16_sdwa v58, v201, v29 dst_sel:DWORD dst_unused:UNUSED_PAD src0_sel:DWORD src1_sel:WORD_1
	v_mul_f16_sdwa v61, v202, v30 dst_sel:DWORD dst_unused:UNUSED_PAD src0_sel:DWORD src1_sel:WORD_1
	v_fma_f16 v93, -0.5, v87, v109
	v_sub_f16_e32 v87, v207, v211
	v_add_f16_e32 v88, v109, v114
	v_add_f16_e32 v89, v115, v206
	;; [unrolled: 1-line block ×3, first 2 shown]
	v_fmac_f16_e32 v225, v194, v176
	v_mul_f16_sdwa v84, v91, v33 dst_sel:DWORD dst_unused:UNUSED_PAD src0_sel:DWORD src1_sel:WORD_1
	v_fmac_f16_e32 v56, v195, v32
	v_fma_f16 v86, v95, v35, -v59
	s_waitcnt vmcnt(1)
	v_mul_f16_sdwa v60, v199, v174 dst_sel:DWORD dst_unused:UNUSED_PAD src0_sel:DWORD src1_sel:WORD_1
	v_mul_f16_sdwa v59, v92, v29 dst_sel:DWORD dst_unused:UNUSED_PAD src0_sel:DWORD src1_sel:WORD_1
	v_fma_f16 v58, v92, v29, -v58
	v_mul_f16_sdwa v194, v94, v30 dst_sel:DWORD dst_unused:UNUSED_PAD src0_sel:DWORD src1_sel:WORD_1
	v_mul_f16_sdwa v62, v203, v31 dst_sel:DWORD dst_unused:UNUSED_PAD src0_sel:DWORD src1_sel:WORD_1
	v_fma_f16 v195, v94, v30, -v61
	v_fmamk_f16 v92, v87, 0x3aee, v93
	v_fmac_f16_e32 v93, 0xbaee, v87
	v_add_f16_e32 v87, v106, v115
	v_fmac_f16_e32 v106, -0.5, v89
	v_add_f16_e32 v89, v205, v209
	v_fmac_f16_e32 v205, -0.5, v90
	v_add_f16_e32 v91, v88, v116
	v_sub_f16_e32 v88, v209, v213
	v_sub_f16_e32 v94, v115, v206
	v_fma_f16 v67, v111, v174, -v60
	v_mul_f16_sdwa v60, v96, v31 dst_sel:DWORD dst_unused:UNUSED_PAD src0_sel:DWORD src1_sel:WORD_1
	v_fma_f16 v64, v96, v31, -v62
	s_waitcnt vmcnt(0)
	v_mul_f16_sdwa v62, v221, v171 dst_sel:DWORD dst_unused:UNUSED_PAD src0_sel:DWORD src1_sel:WORD_1
	v_add_f16_e32 v90, v207, v211
	v_fmamk_f16 v96, v88, 0x3aee, v106
	v_fmamk_f16 v109, v94, 0xbaee, v205
	v_fmac_f16_e32 v106, 0xbaee, v88
	v_fmac_f16_e32 v205, 0x3aee, v94
	v_mul_f16_sdwa v66, v95, v35 dst_sel:DWORD dst_unused:UNUSED_PAD src0_sel:DWORD src1_sel:WORD_1
	v_mul_f16_sdwa v61, v112, v171 dst_sel:DWORD dst_unused:UNUSED_PAD src0_sel:DWORD src1_sel:WORD_1
	v_fma_f16 v62, v112, v171, -v62
	v_add_f16_e32 v95, v113, v207
	v_fmac_f16_e32 v113, -0.5, v90
	v_sub_f16_e32 v90, v114, v116
	v_mul_f16_e32 v112, 0x3aee, v109
	v_mul_f16_e32 v114, -0.5, v106
	v_mul_f16_e32 v116, -0.5, v205
	v_mul_f16_sdwa v63, v111, v174 dst_sel:DWORD dst_unused:UNUSED_PAD src0_sel:DWORD src1_sel:WORD_1
	v_add_f16_e32 v95, v95, v211
	v_fmac_f16_e32 v112, 0.5, v96
	v_fmac_f16_e32 v114, 0x3aee, v205
	v_mul_f16_e32 v96, 0xbaee, v96
	v_fmac_f16_e32 v116, 0xbaee, v106
	v_add_f16_e32 v106, v178, v180
	v_fmamk_f16 v111, v90, 0xbaee, v113
	v_fmac_f16_e32 v113, 0x3aee, v90
	v_add_f16_e32 v94, v87, v206
	v_add_f16_e32 v115, v89, v213
	;; [unrolled: 1-line block ×4, first 2 shown]
	v_fmac_f16_e32 v96, 0.5, v109
	v_sub_f16_e32 v92, v92, v112
	v_sub_f16_e32 v93, v93, v114
	v_add_f16_e32 v112, v110, v178
	v_fmac_f16_e32 v110, -0.5, v106
	v_sub_f16_e32 v114, v204, v210
	v_add_f16_e32 v87, v91, v94
	v_add_f16_e32 v90, v95, v115
	v_sub_f16_e32 v91, v91, v94
	v_add_f16_e32 v94, v111, v96
	v_add_f16_e32 v106, v113, v116
	v_sub_f16_e32 v109, v95, v115
	v_sub_f16_e32 v95, v111, v96
	;; [unrolled: 1-line block ×3, first 2 shown]
	v_fmamk_f16 v111, v114, 0x3aee, v110
	v_add_f16_e32 v113, v204, v210
	v_fmac_f16_e32 v110, 0xbaee, v114
	v_add_f16_e32 v114, v208, v181
	v_add_f16_e32 v115, v118, v204
	;; [unrolled: 1-line block ×3, first 2 shown]
	v_fmac_f16_e32 v118, -0.5, v113
	v_add_f16_e32 v113, v117, v208
	v_fmac_f16_e32 v117, -0.5, v114
	v_add_f16_e32 v114, v215, v179
	v_sub_f16_e32 v179, v179, v212
	v_fmac_f16_e32 v84, v196, v33
	v_fmac_f16_e32 v65, v197, v34
	v_fmac_f16_e32 v215, -0.5, v116
	v_sub_f16_e32 v196, v208, v181
	v_fmamk_f16 v197, v179, 0x3aee, v117
	v_fmac_f16_e32 v117, 0xbaee, v179
	v_add_f16_e32 v112, v112, v180
	v_sub_f16_e32 v178, v178, v180
	v_fmamk_f16 v180, v196, 0xbaee, v215
	v_fmac_f16_e32 v215, 0x3aee, v196
	v_mul_f16_e32 v196, -0.5, v117
	v_add_f16_e32 v113, v113, v181
	v_fmamk_f16 v179, v178, 0xbaee, v118
	v_fmac_f16_e32 v118, 0x3aee, v178
	v_mul_f16_e32 v178, 0x3aee, v180
	v_mul_f16_e32 v181, 0xbaee, v197
	v_fmac_f16_e32 v196, 0x3aee, v215
	v_add_f16_e32 v115, v115, v210
	v_add_f16_e32 v114, v114, v212
	v_fmac_f16_e32 v178, 0.5, v197
	v_mul_f16_e32 v197, -0.5, v215
	v_fmac_f16_e32 v181, 0.5, v180
	v_add_f16_e32 v180, v110, v196
	v_sub_f16_e32 v196, v110, v196
	v_add_f16_e32 v110, v217, v223
	v_fmac_f16_e32 v66, v198, v35
	v_fmac_f16_e32 v63, v199, v174
	v_lshrrev_b32_e32 v116, 16, v46
	v_add_f16_e32 v198, v112, v113
	v_add_f16_e32 v199, v111, v178
	v_fmac_f16_e32 v197, 0xbaee, v117
	v_add_f16_e32 v117, v115, v114
	v_sub_f16_e32 v112, v112, v113
	v_add_f16_e32 v113, v179, v181
	v_sub_f16_e32 v178, v111, v178
	v_sub_f16_e32 v114, v115, v114
	v_add_f16_e32 v111, v46, v217
	v_fma_f16 v46, -0.5, v110, v46
	v_sub_f16_e32 v110, v182, v184
	v_sub_f16_e32 v115, v179, v181
	v_add_f16_e32 v179, v182, v184
	v_fmac_f16_e32 v55, v200, v28
	v_fmac_f16_e32 v59, v201, v29
	v_fmamk_f16 v181, v110, 0x3aee, v46
	v_fmac_f16_e32 v46, 0xbaee, v110
	v_add_f16_e32 v110, v116, v182
	v_add_f16_e32 v182, v222, v224
	v_fmac_f16_e32 v116, -0.5, v179
	v_add_f16_e32 v179, v183, v218
	v_add_f16_e32 v200, v118, v197
	v_sub_f16_e32 v118, v118, v197
	v_sub_f16_e32 v197, v217, v223
	v_add_f16_e32 v201, v216, v222
	v_fmac_f16_e32 v216, -0.5, v182
	v_add_f16_e32 v182, v214, v183
	v_fmac_f16_e32 v214, -0.5, v179
	v_sub_f16_e32 v179, v222, v224
	v_sub_f16_e32 v183, v183, v218
	v_add_f16_e32 v110, v110, v184
	v_fmamk_f16 v184, v197, 0xbaee, v116
	v_fmac_f16_e32 v116, 0x3aee, v197
	v_fmamk_f16 v197, v179, 0xbaee, v214
	v_fmac_f16_e32 v194, v202, v30
	v_fmac_f16_e32 v60, v203, v31
	v_fmamk_f16 v202, v183, 0x3aee, v216
	v_fmac_f16_e32 v214, 0x3aee, v179
	v_mul_f16_e32 v203, 0x3aee, v197
	v_fmac_f16_e32 v216, 0xbaee, v183
	v_add_f16_e32 v111, v111, v223
	v_mul_f16_e32 v204, 0xbaee, v202
	v_add_f16_e32 v201, v201, v224
	v_fmac_f16_e32 v203, 0.5, v202
	v_mul_f16_e32 v202, -0.5, v214
	v_mul_f16_e32 v179, -0.5, v216
	v_fmac_f16_e32 v204, 0.5, v197
	v_add_f16_e32 v182, v182, v218
	v_add_f16_e32 v205, v111, v201
	v_fmac_f16_e32 v202, 0xbaee, v216
	v_fmac_f16_e32 v179, 0x3aee, v214
	v_sub_f16_e32 v201, v111, v201
	v_add_f16_e32 v111, v219, v192
	v_add_f16_e32 v207, v184, v204
	v_sub_f16_e32 v184, v184, v204
	v_add_f16_e32 v204, v116, v202
	v_sub_f16_e32 v116, v116, v202
	v_add_f16_e32 v202, v190, v193
	v_add_f16_e32 v209, v187, v225
	v_lshrrev_b32_e32 v183, 16, v47
	v_add_f16_e32 v197, v181, v203
	v_add_f16_e32 v206, v46, v179
	v_sub_f16_e32 v181, v181, v203
	v_add_f16_e32 v203, v110, v182
	v_sub_f16_e32 v46, v46, v179
	v_sub_f16_e32 v179, v110, v182
	v_add_f16_e32 v110, v47, v219
	v_fmac_f16_e32 v47, -0.5, v111
	v_sub_f16_e32 v111, v220, v191
	v_add_f16_e32 v208, v185, v190
	v_fmac_f16_e32 v185, -0.5, v202
	v_sub_f16_e32 v202, v187, v225
	v_add_f16_e32 v210, v220, v191
	v_add_f16_e32 v187, v186, v187
	v_fmac_f16_e32 v186, -0.5, v209
	v_sub_f16_e32 v190, v190, v193
	v_fmamk_f16 v182, v111, 0x3aee, v47
	v_fmac_f16_e32 v47, 0xbaee, v111
	v_add_f16_e32 v111, v183, v220
	v_fmamk_f16 v209, v202, 0x3aee, v185
	v_fmac_f16_e32 v185, 0xbaee, v202
	v_fmac_f16_e32 v183, -0.5, v210
	v_sub_f16_e32 v202, v219, v192
	v_fmamk_f16 v210, v190, 0xbaee, v186
	v_fmac_f16_e32 v186, 0x3aee, v190
	v_mul_f16_e32 v190, -0.5, v185
	v_add_f16_e32 v192, v110, v192
	v_fmamk_f16 v211, v202, 0xbaee, v183
	v_fmac_f16_e32 v183, 0x3aee, v202
	v_mul_f16_e32 v202, 0x3aee, v210
	v_add_f16_e32 v191, v111, v191
	v_fmac_f16_e32 v190, 0x3aee, v186
	ds_read2_b32 v[110:111], v104 offset0:112 offset1:172
	v_mul_f16_e32 v186, -0.5, v186
	v_fmac_f16_e32 v202, 0.5, v209
	v_fmac_f16_e32 v61, v221, v171
	v_add_f16_e32 v193, v208, v193
	v_add_f16_e32 v187, v187, v225
	v_fmac_f16_e32 v186, 0xbaee, v185
	v_add_f16_e32 v185, v182, v202
	v_sub_f16_e32 v202, v182, v202
	v_add_f16_e32 v182, v195, v62
	v_add_f16_e32 v213, v54, v195
	v_add_f16_e32 v214, v194, v61
	v_mul_f16_e32 v208, 0xbaee, v209
	v_add_f16_e32 v212, v47, v190
	v_fmac_f16_e32 v54, -0.5, v182
	v_sub_f16_e32 v182, v194, v61
	v_sub_f16_e32 v47, v47, v190
	v_add_f16_e32 v190, v192, v193
	v_sub_f16_e32 v192, v192, v193
	v_add_f16_e32 v193, v191, v187
	;; [unrolled: 2-line block ×3, first 2 shown]
	v_add_f16_e32 v194, v55, v194
	v_fmac_f16_e32 v55, -0.5, v214
	v_sub_f16_e32 v195, v195, v62
	v_fmamk_f16 v214, v182, 0x3aee, v54
	v_fmac_f16_e32 v54, 0xbaee, v182
	v_fmac_f16_e32 v208, 0.5, v210
	s_waitcnt lgkmcnt(0)
	v_lshrrev_b32_e32 v210, 16, v111
	v_add_f16_e32 v215, v111, v58
	v_fmac_f16_e32 v111, -0.5, v191
	v_sub_f16_e32 v182, v59, v60
	v_fmamk_f16 v191, v195, 0xbaee, v55
	v_fmac_f16_e32 v55, 0x3aee, v195
	v_mul_f16_e32 v195, -0.5, v54
	v_add_f16_e32 v216, v85, v86
	v_add_f16_e32 v209, v211, v208
	v_sub_f16_e32 v208, v211, v208
	v_fmamk_f16 v211, v182, 0x3aee, v111
	v_fmac_f16_e32 v111, 0xbaee, v182
	v_fmac_f16_e32 v195, 0x3aee, v55
	v_add_f16_e32 v217, v183, v186
	v_sub_f16_e32 v186, v183, v186
	v_fma_f16 v182, -0.5, v216, v110
	v_lshrrev_b32_e32 v183, 16, v110
	v_add_f16_e32 v110, v110, v85
	v_add_f16_e32 v216, v111, v195
	;; [unrolled: 1-line block ×3, first 2 shown]
	v_sub_f16_e32 v111, v111, v195
	v_add_f16_e32 v195, v183, v84
	v_sub_f16_e32 v84, v84, v66
	v_add_f16_e32 v110, v110, v86
	;; [unrolled: 2-line block ×3, first 2 shown]
	v_add_f16_e32 v219, v65, v63
	v_fmac_f16_e32 v183, -0.5, v218
	v_fmamk_f16 v218, v84, 0x3aee, v182
	v_fmac_f16_e32 v182, 0xbaee, v84
	v_add_f16_e32 v84, v57, v83
	v_fmac_f16_e32 v57, -0.5, v86
	v_add_f16_e32 v86, v56, v65
	v_fmac_f16_e32 v56, -0.5, v219
	v_sub_f16_e32 v83, v83, v67
	v_sub_f16_e32 v65, v65, v63
	v_add_f16_e32 v66, v195, v66
	v_fmamk_f16 v195, v85, 0xbaee, v183
	v_fmac_f16_e32 v183, 0x3aee, v85
	v_fmamk_f16 v85, v83, 0xbaee, v56
	v_fmamk_f16 v219, v65, 0x3aee, v57
	v_fmac_f16_e32 v57, 0xbaee, v65
	v_fmac_f16_e32 v56, 0x3aee, v83
	v_add_f16_e32 v65, v84, v67
	v_mul_f16_e32 v67, 0x3aee, v85
	v_mul_f16_e32 v83, 0xbaee, v219
	v_mul_f16_e32 v84, -0.5, v57
	v_mul_f16_e32 v220, -0.5, v56
	v_sub_f16_e32 v58, v58, v64
	v_add_f16_e32 v61, v194, v61
	v_fmac_f16_e32 v83, 0.5, v85
	v_fmac_f16_e32 v84, 0x3aee, v56
	v_fmac_f16_e32 v220, 0xbaee, v57
	v_add_f16_e32 v56, v110, v65
	v_sub_f16_e32 v57, v110, v65
	v_add_f16_e32 v110, v59, v60
	v_add_f16_e32 v85, v182, v84
	v_sub_f16_e32 v84, v182, v84
	v_add_f16_e32 v59, v210, v59
	v_mul_f16_e32 v182, 0xbaee, v214
	v_fmac_f16_e32 v210, -0.5, v110
	v_pack_b32_f16 v87, v87, v90
	v_pack_b32_f16 v89, v89, v94
	v_add_f16_e32 v59, v59, v60
	v_fmac_f16_e32 v182, 0.5, v191
	v_fmamk_f16 v60, v58, 0xbaee, v210
	v_pack_b32_f16 v88, v88, v106
	v_pack_b32_f16 v90, v91, v109
	v_add_f16_e32 v63, v86, v63
	v_pack_b32_f16 v91, v92, v95
	v_pack_b32_f16 v92, v93, v96
	v_fmac_f16_e32 v210, 0x3aee, v58
	v_mul_f16_e32 v58, 0x3aee, v191
	v_add_f16_e32 v191, v59, v61
	v_sub_f16_e32 v59, v59, v61
	v_add_f16_e32 v61, v60, v182
	v_sub_f16_e32 v60, v60, v182
	v_lshlrev_b32_e32 v182, 2, v50
	v_mul_f16_e32 v55, -0.5, v55
	v_fmac_f16_e32 v67, 0.5, v219
	s_barrier
	buffer_gl0_inv
	ds_write2_b32 v119, v87, v89 offset1:60
	ds_write2_b32 v119, v88, v90 offset0:120 offset1:180
	ds_write2_b32 v104, v91, v92 offset0:112 offset1:172
	v_pack_b32_f16 v87, v198, v117
	v_pack_b32_f16 v88, v199, v113
	;; [unrolled: 1-line block ×4, first 2 shown]
	v_add_f16_e32 v86, v66, v63
	v_sub_f16_e32 v63, v66, v63
	v_add_f16_e32 v66, v195, v83
	v_sub_f16_e32 v83, v195, v83
	;; [unrolled: 2-line block ×3, first 2 shown]
	v_pack_b32_f16 v50, v178, v115
	v_pack_b32_f16 v91, v196, v118
	v_lshlrev_b32_e32 v183, 2, v51
	v_add_f16_e32 v64, v215, v64
	v_add_f16_e32 v62, v213, v62
	v_fmac_f16_e32 v58, 0.5, v214
	v_pack_b32_f16 v92, v205, v203
	v_pack_b32_f16 v93, v197, v207
	v_add_nc_u32_e32 v94, 0xa00, v182
	v_fmac_f16_e32 v55, 0xbaee, v54
	v_pack_b32_f16 v95, v206, v204
	v_pack_b32_f16 v96, v201, v179
	v_add_nc_u32_e32 v106, 0xc00, v182
	v_add_f16_e32 v65, v218, v67
	ds_write2_b32 v100, v87, v88 offset0:104 offset1:164
	ds_write2_b32 v103, v89, v90 offset0:96 offset1:156
	;; [unrolled: 1-line block ×5, first 2 shown]
	v_pack_b32_f16 v50, v181, v184
	v_lshlrev_b32_sdwa v184, v49, v53 dst_sel:DWORD dst_unused:UNUSED_PAD src0_sel:DWORD src1_sel:WORD_0
	v_pack_b32_f16 v46, v46, v116
	v_sub_f16_e32 v67, v218, v67
	v_pack_b32_f16 v51, v190, v193
	v_pack_b32_f16 v87, v185, v209
	v_add_nc_u32_e32 v88, 0x1000, v183
	v_add_f16_e32 v54, v64, v62
	v_sub_f16_e32 v62, v64, v62
	v_add_f16_e32 v64, v211, v58
	v_pack_b32_f16 v89, v212, v217
	v_pack_b32_f16 v90, v192, v187
	v_lshlrev_b32_sdwa v185, v49, v52 dst_sel:DWORD dst_unused:UNUSED_PAD src0_sel:DWORD src1_sel:WORD_0
	v_add_f16_e32 v194, v210, v55
	v_pack_b32_f16 v91, v202, v208
	v_pack_b32_f16 v47, v47, v186
	v_add_nc_u32_e32 v53, 0x1400, v183
	v_sub_f16_e32 v58, v211, v58
	v_sub_f16_e32 v55, v210, v55
	v_pack_b32_f16 v56, v56, v86
	v_pack_b32_f16 v65, v65, v66
	v_add_nc_u32_e32 v66, 0x1400, v184
	ds_write2_b32 v106, v50, v46 offset0:192 offset1:252
	ds_write2_b32 v88, v51, v87 offset0:56 offset1:116
	;; [unrolled: 1-line block ×5, first 2 shown]
	v_pack_b32_f16 v46, v85, v110
	v_pack_b32_f16 v47, v57, v63
	v_add_nc_u32_e32 v50, 0x1800, v184
	v_pack_b32_f16 v49, v67, v83
	v_pack_b32_f16 v51, v84, v195
	;; [unrolled: 1-line block ×4, first 2 shown]
	v_add_nc_u32_e32 v54, 0x1c00, v185
	v_pack_b32_f16 v56, v216, v194
	v_pack_b32_f16 v57, v62, v59
	;; [unrolled: 1-line block ×4, first 2 shown]
	v_add_nc_u32_e32 v59, 0x1e00, v185
	ds_write2_b32 v50, v46, v47 offset0:24 offset1:84
	ds_write2_b32 v50, v49, v51 offset0:144 offset1:204
	;; [unrolled: 1-line block ×5, first 2 shown]
	s_waitcnt lgkmcnt(0)
	s_barrier
	buffer_gl0_inv
	global_load_dwordx4 v[56:59], v[44:45], off offset:1400
	v_mad_u64_u32 v[60:61], null, v48, 20, s[0:1]
	s_clause 0x1
	global_load_dword v181, v[44:45], off offset:1416
	global_load_dwordx4 v[52:55], v[60:61], off offset:1400
	v_add_co_u32 v44, s0, 0x4b0, v60
	v_add_co_ci_u32_e64 v45, s0, 0, v61, s0
	s_clause 0x1
	global_load_dword v180, v[60:61], off offset:1416
	global_load_dwordx4 v[48:51], v[44:45], off offset:1400
	v_add_co_u32 v62, s0, 0x960, v60
	v_add_co_ci_u32_e64 v63, s0, 0, v61, s0
	s_clause 0x2
	global_load_dword v179, v[44:45], off offset:1416
	global_load_dwordx4 v[44:47], v[62:63], off offset:1400
	global_load_dword v178, v[62:63], off offset:1416
	v_add_co_u32 v83, s0, 0xe10, v60
	v_add_co_ci_u32_e64 v84, s0, 0, v61, s0
	v_add_co_u32 v85, s0, 0x12c0, v60
	v_add_co_ci_u32_e64 v86, s0, 0, v61, s0
	s_clause 0x1
	global_load_dwordx4 v[64:67], v[83:84], off offset:1400
	global_load_dwordx4 v[60:63], v[85:86], off offset:1400
	ds_read2_b32 v[87:88], v119 offset1:60
	ds_read2_b32 v[89:90], v100 offset0:104 offset1:164
	ds_read2_b32 v[91:92], v107 offset0:80 offset1:140
	;; [unrolled: 1-line block ×3, first 2 shown]
	global_load_dword v187, v[83:84], off offset:1416
	ds_read2_b32 v[83:84], v105 offset0:160 offset1:220
	ds_read2_b32 v[95:96], v108 offset0:8 offset1:68
	global_load_dword v186, v[85:86], off offset:1416
	ds_read2_b32 v[85:86], v103 offset0:96 offset1:156
	ds_read2_b32 v[109:110], v101 offset0:72 offset1:132
	ds_read2_b32 v[111:112], v99 offset0:176 offset1:236
	ds_read2_b32 v[113:114], v188 offset0:24 offset1:84
	ds_read2_b32 v[115:116], v108 offset0:128 offset1:188
	ds_read2_b32 v[117:118], v119 offset0:120 offset1:180
	s_waitcnt lgkmcnt(11)
	v_lshrrev_b32_e32 v106, 16, v87
	s_waitcnt lgkmcnt(10)
	v_lshrrev_b32_e32 v190, 16, v89
	;; [unrolled: 2-line block ×6, first 2 shown]
	v_lshrrev_b32_e32 v196, 16, v90
	v_lshrrev_b32_e32 v197, 16, v92
	;; [unrolled: 1-line block ×5, first 2 shown]
	s_waitcnt lgkmcnt(5)
	v_lshrrev_b32_e32 v201, 16, v85
	s_waitcnt lgkmcnt(4)
	v_lshrrev_b32_e32 v202, 16, v109
	s_waitcnt lgkmcnt(3)
	v_lshrrev_b32_e32 v203, 16, v111
	s_waitcnt lgkmcnt(2)
	v_lshrrev_b32_e32 v204, 16, v113
	v_lshrrev_b32_e32 v206, 16, v86
	s_waitcnt lgkmcnt(1)
	v_lshrrev_b32_e32 v205, 16, v115
	v_lshrrev_b32_e32 v207, 16, v110
	;; [unrolled: 1-line block ×6, first 2 shown]
	s_waitcnt vmcnt(11)
	v_mul_f16_sdwa v209, v190, v56 dst_sel:DWORD dst_unused:UNUSED_PAD src0_sel:DWORD src1_sel:WORD_1
	v_mul_f16_sdwa v212, v89, v56 dst_sel:DWORD dst_unused:UNUSED_PAD src0_sel:DWORD src1_sel:WORD_1
	;; [unrolled: 1-line block ×4, first 2 shown]
	v_fma_f16 v89, v89, v56, -v209
	v_mul_f16_sdwa v209, v91, v57 dst_sel:DWORD dst_unused:UNUSED_PAD src0_sel:DWORD src1_sel:WORD_1
	v_fmac_f16_e32 v212, v190, v56
	v_mul_f16_sdwa v190, v93, v58 dst_sel:DWORD dst_unused:UNUSED_PAD src0_sel:DWORD src1_sel:WORD_1
	v_fma_f16 v91, v91, v57, -v213
	v_fma_f16 v93, v93, v58, -v214
	v_fmac_f16_e32 v209, v191, v57
	v_mul_f16_sdwa v191, v193, v59 dst_sel:DWORD dst_unused:UNUSED_PAD src0_sel:DWORD src1_sel:WORD_1
	v_mul_f16_sdwa v213, v83, v59 dst_sel:DWORD dst_unused:UNUSED_PAD src0_sel:DWORD src1_sel:WORD_1
	v_fmac_f16_e32 v190, v192, v58
	s_waitcnt vmcnt(10)
	v_mul_f16_sdwa v192, v194, v181 dst_sel:DWORD dst_unused:UNUSED_PAD src0_sel:DWORD src1_sel:WORD_1
	v_mul_f16_sdwa v214, v95, v181 dst_sel:DWORD dst_unused:UNUSED_PAD src0_sel:DWORD src1_sel:WORD_1
	v_fma_f16 v83, v83, v59, -v191
	v_fmac_f16_e32 v213, v193, v59
	s_waitcnt vmcnt(9)
	v_mul_f16_sdwa v191, v196, v52 dst_sel:DWORD dst_unused:UNUSED_PAD src0_sel:DWORD src1_sel:WORD_1
	v_fma_f16 v95, v95, v181, -v192
	v_fmac_f16_e32 v214, v194, v181
	v_mul_f16_sdwa v192, v90, v52 dst_sel:DWORD dst_unused:UNUSED_PAD src0_sel:DWORD src1_sel:WORD_1
	v_mul_f16_sdwa v193, v197, v53 dst_sel:DWORD dst_unused:UNUSED_PAD src0_sel:DWORD src1_sel:WORD_1
	;; [unrolled: 1-line block ×3, first 2 shown]
	v_fma_f16 v191, v90, v52, -v191
	v_mul_f16_sdwa v90, v92, v53 dst_sel:DWORD dst_unused:UNUSED_PAD src0_sel:DWORD src1_sel:WORD_1
	v_fmac_f16_e32 v192, v196, v52
	v_fma_f16 v92, v92, v53, -v193
	v_mul_f16_sdwa v193, v94, v54 dst_sel:DWORD dst_unused:UNUSED_PAD src0_sel:DWORD src1_sel:WORD_1
	v_fma_f16 v94, v94, v54, -v194
	v_mul_f16_sdwa v194, v199, v55 dst_sel:DWORD dst_unused:UNUSED_PAD src0_sel:DWORD src1_sel:WORD_1
	v_mul_f16_sdwa v196, v84, v55 dst_sel:DWORD dst_unused:UNUSED_PAD src0_sel:DWORD src1_sel:WORD_1
	v_fmac_f16_e32 v90, v197, v53
	v_fmac_f16_e32 v193, v198, v54
	s_waitcnt vmcnt(8)
	v_mul_f16_sdwa v197, v200, v180 dst_sel:DWORD dst_unused:UNUSED_PAD src0_sel:DWORD src1_sel:WORD_1
	v_mul_f16_sdwa v198, v96, v180 dst_sel:DWORD dst_unused:UNUSED_PAD src0_sel:DWORD src1_sel:WORD_1
	v_fma_f16 v84, v84, v55, -v194
	v_fmac_f16_e32 v196, v199, v55
	s_waitcnt vmcnt(7)
	v_mul_f16_sdwa v194, v201, v48 dst_sel:DWORD dst_unused:UNUSED_PAD src0_sel:DWORD src1_sel:WORD_1
	v_mul_f16_sdwa v199, v202, v49 dst_sel:DWORD dst_unused:UNUSED_PAD src0_sel:DWORD src1_sel:WORD_1
	v_fma_f16 v96, v96, v180, -v197
	v_fmac_f16_e32 v198, v200, v180
	v_mul_f16_sdwa v197, v85, v48 dst_sel:DWORD dst_unused:UNUSED_PAD src0_sel:DWORD src1_sel:WORD_1
	v_fma_f16 v194, v85, v48, -v194
	v_mul_f16_sdwa v200, v109, v49 dst_sel:DWORD dst_unused:UNUSED_PAD src0_sel:DWORD src1_sel:WORD_1
	v_mul_f16_sdwa v85, v203, v50 dst_sel:DWORD dst_unused:UNUSED_PAD src0_sel:DWORD src1_sel:WORD_1
	v_fma_f16 v109, v109, v49, -v199
	v_mul_f16_sdwa v199, v111, v50 dst_sel:DWORD dst_unused:UNUSED_PAD src0_sel:DWORD src1_sel:WORD_1
	v_fmac_f16_e32 v197, v201, v48
	v_fmac_f16_e32 v200, v202, v49
	v_fma_f16 v111, v111, v50, -v85
	v_mul_f16_sdwa v85, v204, v51 dst_sel:DWORD dst_unused:UNUSED_PAD src0_sel:DWORD src1_sel:WORD_1
	v_mul_f16_sdwa v201, v113, v51 dst_sel:DWORD dst_unused:UNUSED_PAD src0_sel:DWORD src1_sel:WORD_1
	v_fmac_f16_e32 v199, v203, v50
	s_waitcnt vmcnt(6)
	v_mul_f16_sdwa v202, v115, v179 dst_sel:DWORD dst_unused:UNUSED_PAD src0_sel:DWORD src1_sel:WORD_1
	s_waitcnt vmcnt(5)
	v_mul_f16_sdwa v203, v206, v44 dst_sel:DWORD dst_unused:UNUSED_PAD src0_sel:DWORD src1_sel:WORD_1
	v_fma_f16 v113, v113, v51, -v85
	v_fmac_f16_e32 v201, v204, v51
	v_mul_f16_sdwa v85, v205, v179 dst_sel:DWORD dst_unused:UNUSED_PAD src0_sel:DWORD src1_sel:WORD_1
	v_fmac_f16_e32 v202, v205, v179
	v_fma_f16 v203, v86, v44, -v203
	v_mul_f16_sdwa v204, v86, v44 dst_sel:DWORD dst_unused:UNUSED_PAD src0_sel:DWORD src1_sel:WORD_1
	v_mul_f16_sdwa v86, v207, v45 dst_sel:DWORD dst_unused:UNUSED_PAD src0_sel:DWORD src1_sel:WORD_1
	;; [unrolled: 1-line block ×4, first 2 shown]
	v_fma_f16 v115, v115, v179, -v85
	v_fmac_f16_e32 v204, v206, v44
	v_fma_f16 v110, v110, v45, -v86
	v_fmac_f16_e32 v205, v207, v45
	v_fma_f16 v206, v112, v46, -v215
	v_mul_f16_sdwa v85, v112, v46 dst_sel:DWORD dst_unused:UNUSED_PAD src0_sel:DWORD src1_sel:WORD_1
	v_mul_f16_sdwa v86, v210, v47 dst_sel:DWORD dst_unused:UNUSED_PAD src0_sel:DWORD src1_sel:WORD_1
	s_waitcnt vmcnt(4)
	v_mul_f16_sdwa v207, v211, v178 dst_sel:DWORD dst_unused:UNUSED_PAD src0_sel:DWORD src1_sel:WORD_1
	v_add_f16_e32 v215, v91, v83
	v_mul_f16_sdwa v216, v116, v178 dst_sel:DWORD dst_unused:UNUSED_PAD src0_sel:DWORD src1_sel:WORD_1
	v_mul_f16_sdwa v112, v114, v47 dst_sel:DWORD dst_unused:UNUSED_PAD src0_sel:DWORD src1_sel:WORD_1
	v_fmac_f16_e32 v85, v208, v46
	v_fma_f16 v114, v114, v47, -v86
	v_fma_f16 v86, -0.5, v215, v87
	v_sub_f16_e32 v208, v209, v213
	v_fma_f16 v116, v116, v178, -v207
	v_fmac_f16_e32 v216, v211, v178
	v_add_f16_e32 v207, v93, v95
	v_add_f16_e32 v211, v190, v214
	v_fmac_f16_e32 v112, v210, v47
	v_add_f16_e32 v87, v87, v91
	v_fmamk_f16 v210, v208, 0x3aee, v86
	v_fmac_f16_e32 v86, 0xbaee, v208
	v_add_f16_e32 v208, v89, v93
	v_fmac_f16_e32 v89, -0.5, v207
	v_add_f16_e32 v207, v212, v190
	v_fmac_f16_e32 v212, -0.5, v211
	v_add_f16_e32 v211, v209, v213
	v_add_f16_e32 v209, v106, v209
	v_sub_f16_e32 v190, v190, v214
	v_sub_f16_e32 v93, v93, v95
	v_add_f16_e32 v87, v87, v83
	v_fmac_f16_e32 v106, -0.5, v211
	v_sub_f16_e32 v83, v91, v83
	v_add_f16_e32 v91, v209, v213
	v_fmamk_f16 v209, v190, 0x3aee, v89
	v_fmamk_f16 v211, v93, 0xbaee, v212
	v_fmac_f16_e32 v89, 0xbaee, v190
	v_fmamk_f16 v190, v83, 0xbaee, v106
	v_fmac_f16_e32 v106, 0x3aee, v83
	v_fmac_f16_e32 v212, 0x3aee, v93
	v_mul_f16_e32 v83, 0x3aee, v211
	v_mul_f16_e32 v93, -0.5, v89
	v_add_f16_e32 v95, v208, v95
	v_mul_f16_e32 v208, 0xbaee, v209
	v_add_f16_e32 v207, v207, v214
	v_fmac_f16_e32 v83, 0.5, v209
	v_fmac_f16_e32 v93, 0x3aee, v212
	v_add_f16_e32 v209, v87, v95
	v_mul_f16_e32 v212, -0.5, v212
	v_fmac_f16_e32 v208, 0.5, v211
	v_add_f16_e32 v211, v210, v83
	v_add_f16_e32 v213, v86, v93
	v_sub_f16_e32 v87, v87, v95
	v_sub_f16_e32 v95, v210, v83
	;; [unrolled: 1-line block ×3, first 2 shown]
	v_add_f16_e32 v83, v92, v84
	v_add_f16_e32 v86, v94, v96
	;; [unrolled: 1-line block ×3, first 2 shown]
	v_fmac_f16_e32 v212, 0xbaee, v89
	v_add_f16_e32 v89, v190, v208
	v_sub_f16_e32 v91, v91, v207
	v_sub_f16_e32 v93, v190, v208
	v_add_f16_e32 v190, v88, v92
	v_fmac_f16_e32 v88, -0.5, v83
	v_sub_f16_e32 v83, v90, v196
	v_add_f16_e32 v207, v191, v94
	v_fmac_f16_e32 v191, -0.5, v86
	v_sub_f16_e32 v86, v193, v198
	v_add_f16_e32 v215, v193, v198
	v_add_f16_e32 v208, v106, v212
	v_sub_f16_e32 v106, v106, v212
	v_fmamk_f16 v212, v83, 0x3aee, v88
	v_fmac_f16_e32 v88, 0xbaee, v83
	v_add_f16_e32 v83, v192, v193
	v_fmac_f16_e32 v192, -0.5, v215
	v_add_f16_e32 v193, v195, v90
	v_add_f16_e32 v90, v90, v196
	v_sub_f16_e32 v94, v94, v96
	v_fmamk_f16 v215, v86, 0x3aee, v191
	v_fmac_f16_e32 v191, 0xbaee, v86
	v_add_f16_e32 v198, v83, v198
	v_fmac_f16_e32 v195, -0.5, v90
	v_fmamk_f16 v86, v94, 0xbaee, v192
	v_fmac_f16_e32 v192, 0x3aee, v94
	v_mul_f16_e32 v90, -0.5, v191
	v_add_f16_e32 v94, v190, v84
	v_sub_f16_e32 v190, v92, v84
	v_add_f16_e32 v84, v207, v96
	v_mul_f16_e32 v96, 0xbaee, v215
	v_add_f16_e32 v83, v206, v116
	v_add_f16_e32 v193, v193, v196
	v_mul_f16_e32 v217, 0x3aee, v86
	v_fmac_f16_e32 v90, 0x3aee, v192
	v_fmac_f16_e32 v96, 0.5, v86
	v_add_f16_e32 v86, v110, v114
	v_add_f16_e32 v218, v203, v206
	v_fmac_f16_e32 v203, -0.5, v83
	v_sub_f16_e32 v83, v85, v216
	v_fmac_f16_e32 v217, 0.5, v215
	v_add_f16_e32 v207, v88, v90
	v_sub_f16_e32 v215, v88, v90
	v_add_f16_e32 v219, v94, v84
	v_pack_b32_f16 v88, v213, v208
	v_add_f16_e32 v213, v193, v198
	s_waitcnt lgkmcnt(0)
	v_lshrrev_b32_e32 v196, 16, v118
	v_add_f16_e32 v221, v118, v110
	v_fmac_f16_e32 v118, -0.5, v86
	v_fmamk_f16 v222, v83, 0x3aee, v203
	v_fmac_f16_e32 v203, 0xbaee, v83
	v_add_f16_e32 v83, v85, v216
	v_pack_b32_f16 v86, v211, v89
	v_pack_b32_f16 v211, v87, v91
	v_pack_b32_f16 v95, v95, v93
	v_pack_b32_f16 v106, v210, v106
	v_pack_b32_f16 v209, v209, v214
	v_pack_b32_f16 v210, v219, v213
	v_sub_f16_e32 v220, v94, v84
	ds_read2_b32 v[89:90], v104 offset0:112 offset1:172
	v_add_f16_e32 v208, v204, v85
	v_fmac_f16_e32 v204, -0.5, v83
	ds_read2_b32 v[83:84], v102 offset0:88 offset1:148
	ds_write_b32 v119, v86 offset:1440
	ds_write_b32 v119, v88 offset:2880
	ds_read2_b32 v[85:86], v101 offset0:192 offset1:252
	ds_read2_b32 v[87:88], v105 offset0:40 offset1:100
	;; [unrolled: 1-line block ×4, first 2 shown]
	ds_write_b32 v119, v211 offset:4320
	ds_write_b32 v119, v95 offset:5760
	;; [unrolled: 1-line block ×3, first 2 shown]
	ds_write2_b32 v119, v209, v210 offset1:60
	v_add_f16_e32 v209, v111, v115
	v_sub_f16_e32 v193, v193, v198
	v_add_f16_e32 v198, v199, v202
	v_add_f16_e32 v211, v194, v111
	v_sub_f16_e32 v95, v205, v112
	v_fmac_f16_e32 v194, -0.5, v209
	v_add_f16_e32 v209, v197, v199
	v_fmac_f16_e32 v197, -0.5, v198
	v_sub_f16_e32 v198, v199, v202
	v_sub_f16_e32 v111, v111, v115
	v_fmamk_f16 v210, v95, 0x3aee, v118
	v_fmac_f16_e32 v118, 0xbaee, v95
	v_add_f16_e32 v95, v109, v113
	v_fmamk_f16 v214, v198, 0x3aee, v194
	v_lshrrev_b32_e32 v199, 16, v117
	v_fmamk_f16 v213, v111, 0xbaee, v197
	v_add_f16_e32 v219, v200, v201
	v_sub_f16_e32 v206, v206, v116
	v_mul_f16_e32 v225, 0xbaee, v214
	v_fma_f16 v95, -0.5, v95, v117
	v_add_f16_e32 v223, v199, v200
	v_mul_f16_e32 v224, 0x3aee, v213
	v_fmac_f16_e32 v199, -0.5, v219
	v_sub_f16_e32 v200, v200, v201
	v_sub_f16_e32 v219, v109, v113
	v_fmamk_f16 v106, v206, 0xbaee, v204
	v_fmac_f16_e32 v204, 0x3aee, v206
	v_mul_f16_e32 v206, -0.5, v203
	v_fmac_f16_e32 v225, 0.5, v213
	v_fmamk_f16 v213, v190, 0xbaee, v195
	v_fmac_f16_e32 v224, 0.5, v214
	v_fmamk_f16 v214, v200, 0x3aee, v95
	v_fmamk_f16 v226, v219, 0xbaee, v199
	v_fmac_f16_e32 v206, 0x3aee, v204
	v_add_f16_e32 v227, v212, v217
	v_add_f16_e32 v228, v213, v96
	;; [unrolled: 1-line block ×5, first 2 shown]
	v_sub_f16_e32 v118, v118, v206
	v_pack_b32_f16 v206, v227, v228
	v_pack_b32_f16 v193, v220, v193
	v_add_f16_e32 v109, v117, v109
	s_waitcnt lgkmcnt(10)
	v_lshrrev_b32_e32 v117, 16, v83
	v_lshrrev_b32_e32 v227, 16, v84
	v_pack_b32_f16 v220, v229, v230
	ds_write_b32 v119, v193 offset:4560
	ds_write2_b32 v100, v206, v220 offset0:164 offset1:224
	s_waitcnt vmcnt(3)
	v_mul_f16_sdwa v193, v83, v64 dst_sel:DWORD dst_unused:UNUSED_PAD src0_sel:DWORD src1_sel:WORD_1
	v_mul_f16_sdwa v206, v117, v64 dst_sel:DWORD dst_unused:UNUSED_PAD src0_sel:DWORD src1_sel:WORD_1
	s_waitcnt vmcnt(2)
	v_mul_f16_sdwa v220, v227, v60 dst_sel:DWORD dst_unused:UNUSED_PAD src0_sel:DWORD src1_sel:WORD_1
	s_waitcnt lgkmcnt(9)
	v_lshrrev_b32_e32 v228, 16, v85
	v_lshrrev_b32_e32 v229, 16, v86
	v_fmac_f16_e32 v193, v117, v64
	v_fma_f16 v117, v83, v64, -v206
	v_fma_f16 v206, v84, v60, -v220
	v_mul_f16_sdwa v83, v228, v65 dst_sel:DWORD dst_unused:UNUSED_PAD src0_sel:DWORD src1_sel:WORD_1
	v_mul_f16_sdwa v220, v229, v61 dst_sel:DWORD dst_unused:UNUSED_PAD src0_sel:DWORD src1_sel:WORD_1
	s_waitcnt lgkmcnt(8)
	v_lshrrev_b32_e32 v230, 16, v87
	v_lshrrev_b32_e32 v232, 16, v88
	v_mul_f16_sdwa v235, v85, v65 dst_sel:DWORD dst_unused:UNUSED_PAD src0_sel:DWORD src1_sel:WORD_1
	v_fma_f16 v234, v85, v65, -v83
	v_fma_f16 v220, v86, v61, -v220
	v_mul_f16_sdwa v83, v230, v66 dst_sel:DWORD dst_unused:UNUSED_PAD src0_sel:DWORD src1_sel:WORD_1
	v_mul_f16_sdwa v236, v86, v61 dst_sel:DWORD dst_unused:UNUSED_PAD src0_sel:DWORD src1_sel:WORD_1
	s_waitcnt lgkmcnt(7)
	v_lshrrev_b32_e32 v86, 16, v92
	v_mul_f16_sdwa v233, v84, v60 dst_sel:DWORD dst_unused:UNUSED_PAD src0_sel:DWORD src1_sel:WORD_1
	v_mul_f16_sdwa v84, v232, v62 dst_sel:DWORD dst_unused:UNUSED_PAD src0_sel:DWORD src1_sel:WORD_1
	;; [unrolled: 1-line block ×3, first 2 shown]
	v_fma_f16 v238, v87, v66, -v83
	v_fmac_f16_e32 v235, v228, v65
	v_lshrrev_b32_e32 v85, 16, v91
	v_mul_f16_sdwa v228, v91, v67 dst_sel:DWORD dst_unused:UNUSED_PAD src0_sel:DWORD src1_sel:WORD_1
	v_mul_f16_sdwa v87, v86, v63 dst_sel:DWORD dst_unused:UNUSED_PAD src0_sel:DWORD src1_sel:WORD_1
	v_fma_f16 v83, v88, v62, -v84
	v_mul_f16_sdwa v84, v88, v62 dst_sel:DWORD dst_unused:UNUSED_PAD src0_sel:DWORD src1_sel:WORD_1
	v_fmac_f16_e32 v237, v230, v66
	v_fmac_f16_e32 v233, v227, v60
	;; [unrolled: 1-line block ×4, first 2 shown]
	v_mul_f16_sdwa v85, v85, v67 dst_sel:DWORD dst_unused:UNUSED_PAD src0_sel:DWORD src1_sel:WORD_1
	s_waitcnt lgkmcnt(6)
	v_lshrrev_b32_e32 v88, 16, v93
	s_waitcnt vmcnt(1)
	v_mul_f16_sdwa v227, v93, v187 dst_sel:DWORD dst_unused:UNUSED_PAD src0_sel:DWORD src1_sel:WORD_1
	v_lshrrev_b32_e32 v229, 16, v94
	v_fma_f16 v230, v92, v63, -v87
	v_mul_f16_sdwa v92, v92, v63 dst_sel:DWORD dst_unused:UNUSED_PAD src0_sel:DWORD src1_sel:WORD_1
	v_fma_f16 v91, v91, v67, -v85
	v_mul_f16_sdwa v85, v88, v187 dst_sel:DWORD dst_unused:UNUSED_PAD src0_sel:DWORD src1_sel:WORD_1
	s_waitcnt vmcnt(0)
	v_mul_f16_sdwa v87, v229, v186 dst_sel:DWORD dst_unused:UNUSED_PAD src0_sel:DWORD src1_sel:WORD_1
	v_fmac_f16_e32 v227, v88, v187
	v_mul_f16_e32 v88, -0.5, v192
	v_fmac_f16_e32 v92, v86, v63
	v_fmac_f16_e32 v197, 0x3aee, v111
	v_add_f16_e32 v86, v109, v113
	v_add_f16_e32 v111, v211, v115
	v_fma_f16 v93, v93, v187, -v85
	v_fma_f16 v85, v94, v186, -v87
	v_fmac_f16_e32 v195, 0x3aee, v190
	v_fmac_f16_e32 v88, 0xbaee, v191
	v_fmac_f16_e32 v194, 0xbaee, v198
	v_add_f16_e32 v87, v223, v201
	v_mul_f16_e32 v109, -0.5, v197
	v_add_f16_e32 v113, v209, v202
	v_add_f16_e32 v115, v86, v111
	v_sub_f16_e32 v111, v86, v111
	v_add_f16_e32 v86, v205, v112
	v_mul_f16_sdwa v192, v94, v186 dst_sel:DWORD dst_unused:UNUSED_PAD src0_sel:DWORD src1_sel:WORD_1
	v_sub_f16_e32 v94, v212, v217
	v_sub_f16_e32 v96, v213, v96
	v_add_f16_e32 v212, v195, v88
	v_sub_f16_e32 v213, v195, v88
	v_fmac_f16_e32 v95, 0xbaee, v200
	v_mul_f16_e32 v88, -0.5, v194
	v_fmac_f16_e32 v199, 0x3aee, v219
	v_fmac_f16_e32 v109, 0xbaee, v194
	v_add_f16_e32 v200, v87, v113
	v_sub_f16_e32 v113, v87, v113
	v_add_f16_e32 v87, v196, v205
	v_fmac_f16_e32 v196, -0.5, v86
	v_sub_f16_e32 v86, v110, v114
	v_fmac_f16_e32 v88, 0x3aee, v197
	v_add_f16_e32 v110, v199, v109
	v_sub_f16_e32 v199, v199, v109
	v_fmac_f16_e32 v84, v232, v62
	v_fmamk_f16 v109, v86, 0xbaee, v196
	v_fmac_f16_e32 v196, 0x3aee, v86
	v_mul_f16_e32 v86, 0x3aee, v106
	v_fmac_f16_e32 v192, v229, v186
	v_add_f16_e32 v198, v95, v88
	v_sub_f16_e32 v95, v95, v88
	v_add_f16_e32 v88, v221, v114
	v_add_f16_e32 v87, v87, v112
	v_mul_f16_e32 v112, 0xbaee, v222
	v_mul_f16_e32 v114, -0.5, v204
	v_add_f16_e32 v116, v218, v116
	v_fmac_f16_e32 v86, 0.5, v222
	v_add_f16_e32 v190, v208, v216
	v_fmac_f16_e32 v112, 0.5, v106
	v_fmac_f16_e32 v114, 0xbaee, v203
	v_add_f16_e32 v106, v88, v116
	v_sub_f16_e32 v116, v88, v116
	v_add_f16_e32 v202, v210, v86
	v_sub_f16_e32 v203, v210, v86
	v_add_f16_e32 v86, v83, v85
	v_add_f16_e32 v88, v84, v192
	;; [unrolled: 1-line block ×3, first 2 shown]
	v_sub_f16_e32 v205, v87, v190
	v_add_f16_e32 v190, v206, v83
	v_fmac_f16_e32 v206, -0.5, v86
	v_add_f16_e32 v191, v233, v84
	v_fmac_f16_e32 v233, -0.5, v88
	v_sub_f16_e32 v83, v83, v85
	v_sub_f16_e32 v84, v84, v192
	v_add_f16_e32 v87, v220, v230
	v_add_f16_e32 v208, v109, v112
	v_sub_f16_e32 v112, v109, v112
	v_fmamk_f16 v194, v83, 0xbaee, v233
	v_fmamk_f16 v195, v84, 0x3aee, v206
	v_fmac_f16_e32 v206, 0xbaee, v84
	v_lshrrev_b32_e32 v109, 16, v90
	v_add_f16_e32 v86, v90, v220
	v_fmac_f16_e32 v90, -0.5, v87
	v_sub_f16_e32 v87, v236, v92
	v_mul_f16_e32 v210, 0x3aee, v194
	v_fmac_f16_e32 v233, 0x3aee, v83
	v_mul_f16_e32 v211, -0.5, v206
	v_add_f16_e32 v85, v190, v85
	v_fmamk_f16 v88, v87, 0x3aee, v90
	v_add_f16_e32 v86, v86, v230
	v_fmac_f16_e32 v210, 0.5, v195
	v_fmac_f16_e32 v90, 0xbaee, v87
	v_fmac_f16_e32 v211, 0x3aee, v233
	v_add_f16_e32 v209, v196, v114
	v_sub_f16_e32 v114, v196, v114
	v_add_f16_e32 v83, v86, v85
	v_add_f16_e32 v84, v88, v210
	v_sub_f16_e32 v86, v86, v85
	v_add_f16_e32 v85, v90, v211
	v_sub_f16_e32 v87, v88, v210
	v_add_f16_e32 v190, v234, v91
	v_lshrrev_b32_e32 v196, 16, v89
	v_sub_f16_e32 v88, v90, v211
	v_add_f16_e32 v90, v235, v228
	v_add_f16_e32 v210, v89, v234
	v_fma_f16 v89, -0.5, v190, v89
	v_add_f16_e32 v190, v196, v235
	v_sub_f16_e32 v211, v235, v228
	v_fmac_f16_e32 v196, -0.5, v90
	v_add_f16_e32 v90, v210, v91
	v_add_f16_e32 v210, v238, v93
	;; [unrolled: 1-line block ×3, first 2 shown]
	v_sub_f16_e32 v197, v214, v224
	v_sub_f16_e32 v91, v234, v91
	v_fmamk_f16 v214, v211, 0x3aee, v89
	v_fmac_f16_e32 v89, 0xbaee, v211
	v_add_f16_e32 v211, v117, v238
	v_fmac_f16_e32 v117, -0.5, v210
	v_add_f16_e32 v210, v193, v237
	v_fmac_f16_e32 v193, -0.5, v216
	v_sub_f16_e32 v216, v238, v93
	v_sub_f16_e32 v217, v237, v227
	v_fmamk_f16 v218, v91, 0xbaee, v196
	v_fmac_f16_e32 v196, 0x3aee, v91
	v_add_f16_e32 v93, v211, v93
	v_fmamk_f16 v91, v216, 0xbaee, v193
	v_fmamk_f16 v219, v217, 0x3aee, v117
	v_fmac_f16_e32 v117, 0xbaee, v217
	v_fmac_f16_e32 v193, 0x3aee, v216
	v_add_f16_e32 v190, v190, v228
	v_mul_f16_e32 v211, 0x3aee, v91
	v_mul_f16_e32 v216, 0xbaee, v219
	v_mul_f16_e32 v217, -0.5, v117
	v_mul_f16_e32 v221, -0.5, v193
	v_add_f16_e32 v210, v210, v227
	v_fmac_f16_e32 v211, 0.5, v219
	v_fmac_f16_e32 v216, 0.5, v91
	v_fmac_f16_e32 v217, 0x3aee, v193
	v_add_f16_e32 v193, v236, v92
	v_fmac_f16_e32 v221, 0xbaee, v117
	v_add_f16_e32 v91, v90, v93
	v_sub_f16_e32 v90, v90, v93
	v_add_f16_e32 v93, v214, v211
	v_sub_f16_e32 v117, v214, v211
	;; [unrolled: 2-line block ×3, first 2 shown]
	v_add_f16_e32 v190, v109, v236
	v_fmac_f16_e32 v109, -0.5, v193
	v_sub_f16_e32 v193, v220, v230
	v_mul_f16_e32 v195, 0xbaee, v195
	v_mul_f16_e32 v219, -0.5, v233
	v_add_f16_e32 v92, v190, v92
	v_add_f16_e32 v190, v191, v192
	v_sub_f16_e32 v201, v226, v225
	v_fmamk_f16 v191, v193, 0xbaee, v109
	v_fmac_f16_e32 v195, 0.5, v194
	v_fmac_f16_e32 v109, 0x3aee, v193
	v_fmac_f16_e32 v219, 0xbaee, v206
	v_add_f16_e32 v211, v89, v217
	v_sub_f16_e32 v89, v89, v217
	v_add_f16_e32 v217, v218, v216
	v_add_f16_e32 v193, v92, v190
	v_sub_f16_e32 v194, v92, v190
	v_pack_b32_f16 v92, v207, v212
	v_pack_b32_f16 v110, v198, v110
	;; [unrolled: 1-line block ×3, first 2 shown]
	v_add_f16_e32 v192, v191, v195
	v_sub_f16_e32 v190, v191, v195
	v_add_f16_e32 v191, v109, v219
	v_sub_f16_e32 v195, v109, v219
	v_pack_b32_f16 v94, v94, v96
	v_pack_b32_f16 v113, v197, v201
	v_add_nc_u32_e32 v109, 0x1600, v119
	v_pack_b32_f16 v96, v215, v213
	v_pack_b32_f16 v95, v95, v199
	;; [unrolled: 1-line block ×4, first 2 shown]
	v_sub_f16_e32 v216, v218, v216
	v_add_f16_e32 v218, v196, v221
	ds_write2_b32 v101, v92, v110 offset0:12 offset1:72
	ds_write_b32 v119, v111 offset:4800
	ds_write2_b32 v109, v94, v113 offset0:92 offset1:152
	ds_write2_b32 v108, v96, v95 offset0:68 offset1:128
	;; [unrolled: 1-line block ×3, first 2 shown]
	v_pack_b32_f16 v92, v202, v208
	v_pack_b32_f16 v93, v93, v217
	v_sub_f16_e32 v196, v196, v221
	v_pack_b32_f16 v94, v231, v209
	v_pack_b32_f16 v95, v116, v205
	;; [unrolled: 1-line block ×3, first 2 shown]
	ds_write2_b32 v102, v92, v93 offset0:28 offset1:88
	v_pack_b32_f16 v92, v211, v218
	v_add_nc_u32_e32 v106, 0x1200, v119
	v_pack_b32_f16 v96, v203, v112
	v_pack_b32_f16 v93, v117, v216
	;; [unrolled: 1-line block ×4, first 2 shown]
	ds_write2_b32 v101, v94, v92 offset0:132 offset1:192
	ds_write2_b32 v106, v95, v90 offset0:108 offset1:168
	;; [unrolled: 1-line block ×4, first 2 shown]
	v_pack_b32_f16 v89, v84, v192
	v_pack_b32_f16 v91, v91, v214
	v_pack_b32_f16 v92, v83, v193
	v_pack_b32_f16 v90, v85, v191
	v_lshlrev_b32_e32 v111, 2, v147
	ds_write_b32 v119, v89 offset:2640
	v_pack_b32_f16 v89, v88, v195
	ds_write2_b32 v104, v91, v92 offset0:112 offset1:172
	v_pack_b32_f16 v91, v86, v194
	v_pack_b32_f16 v92, v87, v190
	ds_write_b32 v119, v90 offset:4080
	ds_write_b32 v119, v91 offset:5520
	;; [unrolled: 1-line block ×4, first 2 shown]
	s_waitcnt lgkmcnt(0)
	s_barrier
	buffer_gl0_inv
	s_clause 0x2
	global_load_dword v113, v111, s[2:3]
	global_load_dword v110, v111, s[2:3] offset:864
	global_load_dword v200, v111, s[2:3] offset:1104
	v_add_co_u32 v93, s0, s2, v111
	v_add_co_ci_u32_e64 v94, null, s3, 0, s0
	global_load_dword v201, v111, s[2:3] offset:1728
	v_add_co_u32 v91, s0, 0x1000, v93
	v_add_co_ci_u32_e64 v92, s0, 0, v94, s0
	v_add_co_u32 v89, s0, 0x1800, v93
	v_add_co_ci_u32_e64 v90, s0, 0, v94, s0
	s_clause 0x2
	global_load_dword v202, v[91:92], off offset:1952
	global_load_dword v203, v[89:90], off offset:144
	global_load_dword v204, v111, s[2:3] offset:1968
	v_add_co_u32 v95, s0, 0x800, v93
	v_add_co_ci_u32_e64 v96, s0, 0, v94, s0
	s_clause 0x13
	global_load_dword v205, v[95:96], off offset:544
	global_load_dword v206, v[95:96], off offset:784
	;; [unrolled: 1-line block ×6, first 2 shown]
	global_load_dword v211, v111, s[2:3] offset:240
	global_load_dword v212, v[91:92], off offset:224
	global_load_dword v213, v[91:92], off offset:464
	;; [unrolled: 1-line block ×4, first 2 shown]
	global_load_dword v216, v97, s[2:3]
	global_load_dword v217, v[89:90], off offset:1008
	global_load_dword v218, v111, s[2:3] offset:1344
	global_load_dword v219, v111, s[2:3] offset:480
	global_load_dword v220, v[89:90], off offset:1632
	global_load_dword v221, v[89:90], off offset:1872
	global_load_dword v222, v98, s[2:3]
	global_load_dword v223, v[91:92], off offset:1568
	global_load_dword v224, v[91:92], off offset:704
	v_add_co_u32 v97, s0, 0x2000, v93
	v_add_co_ci_u32_e64 v98, s0, 0, v94, s0
	s_clause 0x2
	global_load_dword v225, v[97:98], off offset:64
	global_load_dword v226, v[89:90], off offset:1248
	global_load_dword v227, v[89:90], off offset:384
	ds_read2_b32 v[111:112], v119 offset1:60
	s_waitcnt lgkmcnt(0)
	v_lshrrev_b32_e32 v114, 16, v111
	s_waitcnt vmcnt(29)
	v_mul_f16_sdwa v115, v114, v113 dst_sel:DWORD dst_unused:UNUSED_PAD src0_sel:DWORD src1_sel:WORD_1
	v_mul_f16_sdwa v116, v111, v113 dst_sel:DWORD dst_unused:UNUSED_PAD src0_sel:DWORD src1_sel:WORD_1
	v_fma_f16 v111, v111, v113, -v115
	v_fmac_f16_e32 v116, v114, v113
	v_pack_b32_f16 v111, v111, v116
	ds_write_b32 v119, v111
	ds_read2_b32 v[113:114], v119 offset0:120 offset1:216
	ds_read2_b32 v[115:116], v100 offset0:20 offset1:80
	;; [unrolled: 1-line block ×4, first 2 shown]
	s_waitcnt lgkmcnt(3)
	v_lshrrev_b32_e32 v111, 16, v114
	s_waitcnt lgkmcnt(2)
	v_lshrrev_b32_e32 v228, 16, v115
	s_waitcnt vmcnt(28)
	v_mul_f16_sdwa v229, v114, v110 dst_sel:DWORD dst_unused:UNUSED_PAD src0_sel:DWORD src1_sel:WORD_1
	s_waitcnt vmcnt(27)
	v_mul_f16_sdwa v231, v115, v200 dst_sel:DWORD dst_unused:UNUSED_PAD src0_sel:DWORD src1_sel:WORD_1
	v_mul_f16_sdwa v198, v111, v110 dst_sel:DWORD dst_unused:UNUSED_PAD src0_sel:DWORD src1_sel:WORD_1
	;; [unrolled: 1-line block ×3, first 2 shown]
	v_fmac_f16_e32 v229, v111, v110
	v_fmac_f16_e32 v231, v228, v200
	s_waitcnt vmcnt(26) lgkmcnt(1)
	v_mul_f16_sdwa v228, v117, v201 dst_sel:DWORD dst_unused:UNUSED_PAD src0_sel:DWORD src1_sel:WORD_1
	v_fma_f16 v114, v114, v110, -v198
	ds_read2_b32 v[198:199], v188 offset0:36 offset1:96
	v_fma_f16 v110, v115, v200, -v230
	s_waitcnt lgkmcnt(1)
	v_lshrrev_b32_e32 v200, 16, v197
	v_pack_b32_f16 v111, v114, v229
	v_lshrrev_b32_e32 v114, 16, v117
	v_pack_b32_f16 v110, v110, v231
	s_waitcnt vmcnt(25)
	v_mul_f16_sdwa v231, v197, v202 dst_sel:DWORD dst_unused:UNUSED_PAD src0_sel:DWORD src1_sel:WORD_1
	v_mul_f16_sdwa v232, v200, v202 dst_sel:DWORD dst_unused:UNUSED_PAD src0_sel:DWORD src1_sel:WORD_1
	;; [unrolled: 1-line block ×3, first 2 shown]
	ds_write2_b32 v104, v111, v110 offset0:88 offset1:148
	ds_read2_b32 v[110:111], v102 offset0:40 offset1:136
	v_lshrrev_b32_e32 v104, 16, v118
	v_fmac_f16_e32 v228, v114, v201
	ds_read2_b32 v[114:115], v107 offset0:68 offset1:128
	v_fmac_f16_e32 v231, v200, v202
	v_fma_f16 v197, v197, v202, -v232
	s_waitcnt vmcnt(23)
	v_mul_f16_sdwa v234, v104, v204 dst_sel:DWORD dst_unused:UNUSED_PAD src0_sel:DWORD src1_sel:WORD_1
	v_fma_f16 v229, v117, v201, -v229
	s_waitcnt lgkmcnt(3)
	v_lshrrev_b32_e32 v230, 16, v198
	v_mul_f16_sdwa v233, v198, v203 dst_sel:DWORD dst_unused:UNUSED_PAD src0_sel:DWORD src1_sel:WORD_1
	v_mul_f16_sdwa v201, v118, v204 dst_sel:DWORD dst_unused:UNUSED_PAD src0_sel:DWORD src1_sel:WORD_1
	v_fma_f16 v200, v118, v204, -v234
	v_pack_b32_f16 v117, v197, v231
	v_mul_f16_sdwa v235, v230, v203 dst_sel:DWORD dst_unused:UNUSED_PAD src0_sel:DWORD src1_sel:WORD_1
	v_fmac_f16_e32 v233, v230, v203
	v_fmac_f16_e32 v201, v104, v204
	v_fma_f16 v198, v198, v203, -v235
	s_waitcnt lgkmcnt(1)
	v_lshrrev_b32_e32 v197, 16, v111
	s_waitcnt vmcnt(22)
	v_mul_f16_sdwa v202, v111, v205 dst_sel:DWORD dst_unused:UNUSED_PAD src0_sel:DWORD src1_sel:WORD_1
	s_waitcnt vmcnt(17)
	v_mul_f16_sdwa v203, v110, v210 dst_sel:DWORD dst_unused:UNUSED_PAD src0_sel:DWORD src1_sel:WORD_1
	v_pack_b32_f16 v118, v198, v233
	v_lshrrev_b32_e32 v198, 16, v110
	s_waitcnt lgkmcnt(0)
	v_lshrrev_b32_e32 v204, 16, v114
	v_mul_f16_sdwa v104, v197, v205 dst_sel:DWORD dst_unused:UNUSED_PAD src0_sel:DWORD src1_sel:WORD_1
	v_fmac_f16_e32 v202, v197, v205
	ds_write2_b32 v109, v117, v118 offset0:104 offset1:164
	v_mul_f16_sdwa v109, v198, v210 dst_sel:DWORD dst_unused:UNUSED_PAD src0_sel:DWORD src1_sel:WORD_1
	ds_read2_b32 v[117:118], v101 offset0:96 offset1:156
	v_fmac_f16_e32 v203, v198, v210
	v_mul_f16_sdwa v230, v204, v206 dst_sel:DWORD dst_unused:UNUSED_PAD src0_sel:DWORD src1_sel:WORD_1
	v_mul_f16_sdwa v231, v114, v206 dst_sel:DWORD dst_unused:UNUSED_PAD src0_sel:DWORD src1_sel:WORD_1
	v_fma_f16 v110, v110, v210, -v109
	v_add_nc_u32_e32 v109, 0xe00, v119
	v_pack_b32_f16 v210, v200, v201
	ds_read2_b32 v[200:201], v99 offset0:116 offset1:176
	v_fma_f16 v104, v111, v205, -v104
	v_pack_b32_f16 v110, v110, v203
	ds_read2_b32 v[197:198], v109 offset0:88 offset1:184
	v_lshrrev_b32_e32 v203, 16, v112
	v_fma_f16 v111, v114, v206, -v230
	v_fmac_f16_e32 v231, v204, v206
	ds_write2_b32 v103, v210, v110 offset0:108 offset1:168
	v_pack_b32_f16 v104, v104, v202
	s_waitcnt vmcnt(16)
	v_mul_f16_sdwa v103, v203, v211 dst_sel:DWORD dst_unused:UNUSED_PAD src0_sel:DWORD src1_sel:WORD_1
	v_mul_f16_sdwa v114, v112, v211 dst_sel:DWORD dst_unused:UNUSED_PAD src0_sel:DWORD src1_sel:WORD_1
	v_pack_b32_f16 v110, v111, v231
	s_waitcnt lgkmcnt(3)
	v_lshrrev_b32_e32 v111, 16, v117
	v_fma_f16 v112, v112, v211, -v103
	v_mul_f16_sdwa v204, v117, v207 dst_sel:DWORD dst_unused:UNUSED_PAD src0_sel:DWORD src1_sel:WORD_1
	ds_write2_b32 v102, v104, v110 offset0:136 offset1:196
	ds_read2_b32 v[103:104], v105 offset0:16 offset1:76
	v_fmac_f16_e32 v114, v203, v211
	v_mul_f16_sdwa v110, v111, v207 dst_sel:DWORD dst_unused:UNUSED_PAD src0_sel:DWORD src1_sel:WORD_1
	s_waitcnt lgkmcnt(4)
	v_lshrrev_b32_e32 v206, 16, v200
	v_fmac_f16_e32 v204, v111, v207
	v_lshrrev_b32_e32 v202, 16, v118
	s_waitcnt lgkmcnt(3)
	v_lshrrev_b32_e32 v203, 16, v198
	s_waitcnt vmcnt(15)
	v_mul_f16_sdwa v205, v198, v212 dst_sel:DWORD dst_unused:UNUSED_PAD src0_sel:DWORD src1_sel:WORD_1
	v_fma_f16 v207, v117, v207, -v110
	s_waitcnt vmcnt(14)
	v_mul_f16_sdwa v211, v200, v213 dst_sel:DWORD dst_unused:UNUSED_PAD src0_sel:DWORD src1_sel:WORD_1
	v_mul_f16_sdwa v230, v206, v213 dst_sel:DWORD dst_unused:UNUSED_PAD src0_sel:DWORD src1_sel:WORD_1
	;; [unrolled: 1-line block ×3, first 2 shown]
	ds_read2_b32 v[110:111], v188 offset0:192 offset1:252
	v_mul_f16_sdwa v117, v202, v208 dst_sel:DWORD dst_unused:UNUSED_PAD src0_sel:DWORD src1_sel:WORD_1
	v_fmac_f16_e32 v205, v203, v212
	v_fmac_f16_e32 v211, v206, v213
	v_fma_f16 v198, v198, v212, -v210
	v_fma_f16 v200, v200, v213, -v230
	v_mul_f16_sdwa v231, v118, v208 dst_sel:DWORD dst_unused:UNUSED_PAD src0_sel:DWORD src1_sel:WORD_1
	v_fma_f16 v206, v118, v208, -v117
	s_waitcnt lgkmcnt(1)
	v_lshrrev_b32_e32 v210, 16, v104
	v_pack_b32_f16 v198, v198, v205
	v_pack_b32_f16 v200, v200, v211
	ds_read2_b32 v[117:118], v108 offset0:56 offset1:152
	v_fmac_f16_e32 v231, v202, v208
	ds_read2_b32 v[202:203], v189 offset0:84 offset1:144
	v_lshrrev_b32_e32 v208, 16, v103
	s_waitcnt vmcnt(13)
	v_mul_f16_sdwa v205, v103, v214 dst_sel:DWORD dst_unused:UNUSED_PAD src0_sel:DWORD src1_sel:WORD_1
	ds_write2_b32 v99, v198, v200 offset0:56 offset1:116
	s_waitcnt vmcnt(12)
	v_mul_f16_sdwa v198, v210, v215 dst_sel:DWORD dst_unused:UNUSED_PAD src0_sel:DWORD src1_sel:WORD_1
	v_pack_b32_f16 v112, v112, v114
	v_mul_f16_sdwa v211, v208, v214 dst_sel:DWORD dst_unused:UNUSED_PAD src0_sel:DWORD src1_sel:WORD_1
	v_fmac_f16_e32 v205, v208, v214
	s_waitcnt lgkmcnt(3)
	v_lshrrev_b32_e32 v200, 16, v110
	v_mul_f16_sdwa v208, v104, v215 dst_sel:DWORD dst_unused:UNUSED_PAD src0_sel:DWORD src1_sel:WORD_1
	v_fma_f16 v104, v104, v215, -v198
	v_lshrrev_b32_e32 v198, 16, v111
	v_fma_f16 v103, v103, v214, -v211
	s_waitcnt vmcnt(11)
	v_mul_f16_sdwa v211, v110, v216 dst_sel:DWORD dst_unused:UNUSED_PAD src0_sel:DWORD src1_sel:WORD_1
	v_mul_f16_sdwa v212, v200, v216 dst_sel:DWORD dst_unused:UNUSED_PAD src0_sel:DWORD src1_sel:WORD_1
	v_fmac_f16_e32 v208, v210, v215
	v_lshrrev_b32_e32 v210, 16, v113
	s_waitcnt vmcnt(10)
	v_mul_f16_sdwa v213, v198, v217 dst_sel:DWORD dst_unused:UNUSED_PAD src0_sel:DWORD src1_sel:WORD_1
	v_fmac_f16_e32 v211, v200, v216
	v_fma_f16 v110, v110, v216, -v212
	v_mul_f16_sdwa v200, v111, v217 dst_sel:DWORD dst_unused:UNUSED_PAD src0_sel:DWORD src1_sel:WORD_1
	s_waitcnt vmcnt(8)
	v_mul_f16_sdwa v212, v210, v219 dst_sel:DWORD dst_unused:UNUSED_PAD src0_sel:DWORD src1_sel:WORD_1
	v_fma_f16 v111, v111, v217, -v213
	s_waitcnt lgkmcnt(2)
	v_lshrrev_b32_e32 v213, 16, v118
	s_waitcnt lgkmcnt(1)
	v_lshrrev_b32_e32 v215, 16, v202
	s_waitcnt vmcnt(7)
	v_mul_f16_sdwa v214, v118, v220 dst_sel:DWORD dst_unused:UNUSED_PAD src0_sel:DWORD src1_sel:WORD_1
	v_fmac_f16_e32 v200, v198, v217
	v_fma_f16 v198, v113, v219, -v212
	v_mul_f16_sdwa v212, v213, v220 dst_sel:DWORD dst_unused:UNUSED_PAD src0_sel:DWORD src1_sel:WORD_1
	s_waitcnt vmcnt(6)
	v_mul_f16_sdwa v216, v202, v221 dst_sel:DWORD dst_unused:UNUSED_PAD src0_sel:DWORD src1_sel:WORD_1
	v_mul_f16_sdwa v217, v215, v221 dst_sel:DWORD dst_unused:UNUSED_PAD src0_sel:DWORD src1_sel:WORD_1
	;; [unrolled: 1-line block ×3, first 2 shown]
	v_fmac_f16_e32 v214, v213, v220
	v_fma_f16 v118, v118, v220, -v212
	v_lshrrev_b32_e32 v212, 16, v116
	v_fmac_f16_e32 v216, v215, v221
	v_fma_f16 v202, v202, v221, -v217
	v_fmac_f16_e32 v113, v210, v219
	v_lshrrev_b32_e32 v210, 16, v115
	v_pack_b32_f16 v118, v118, v214
	v_mul_f16_sdwa v213, v212, v218 dst_sel:DWORD dst_unused:UNUSED_PAD src0_sel:DWORD src1_sel:WORD_1
	v_mul_f16_sdwa v214, v116, v218 dst_sel:DWORD dst_unused:UNUSED_PAD src0_sel:DWORD src1_sel:WORD_1
	v_pack_b32_f16 v202, v202, v216
	s_waitcnt vmcnt(5)
	v_mul_f16_sdwa v215, v210, v222 dst_sel:DWORD dst_unused:UNUSED_PAD src0_sel:DWORD src1_sel:WORD_1
	v_mul_f16_sdwa v216, v115, v222 dst_sel:DWORD dst_unused:UNUSED_PAD src0_sel:DWORD src1_sel:WORD_1
	v_fma_f16 v114, v116, v218, -v213
	v_fmac_f16_e32 v214, v212, v218
	v_pack_b32_f16 v113, v198, v113
	v_fma_f16 v115, v115, v222, -v215
	v_fmac_f16_e32 v216, v210, v222
	v_pack_b32_f16 v116, v229, v228
	v_pack_b32_f16 v114, v114, v214
	ds_write2_b32 v108, v118, v202 offset0:152 offset1:212
	ds_write2_b32 v119, v112, v113 offset0:60 offset1:120
	v_lshrrev_b32_e32 v112, 16, v197
	v_pack_b32_f16 v198, v207, v204
	v_pack_b32_f16 v115, v115, v216
	ds_write2_b32 v100, v114, v116 offset0:80 offset1:176
	ds_write2_b32 v101, v115, v198 offset1:96
	v_mul_f16_sdwa v113, v112, v209 dst_sel:DWORD dst_unused:UNUSED_PAD src0_sel:DWORD src1_sel:WORD_1
	v_mul_f16_sdwa v114, v197, v209 dst_sel:DWORD dst_unused:UNUSED_PAD src0_sel:DWORD src1_sel:WORD_1
	v_lshrrev_b32_e32 v115, 16, v201
	s_waitcnt vmcnt(3)
	v_mul_f16_sdwa v118, v201, v224 dst_sel:DWORD dst_unused:UNUSED_PAD src0_sel:DWORD src1_sel:WORD_1
	v_pack_b32_f16 v116, v206, v231
	v_fma_f16 v113, v197, v209, -v113
	v_fmac_f16_e32 v114, v112, v209
	v_mul_f16_sdwa v112, v115, v224 dst_sel:DWORD dst_unused:UNUSED_PAD src0_sel:DWORD src1_sel:WORD_1
	v_lshrrev_b32_e32 v197, 16, v196
	v_fmac_f16_e32 v118, v115, v224
	v_pack_b32_f16 v111, v111, v200
	v_pack_b32_f16 v113, v113, v114
	v_fma_f16 v112, v201, v224, -v112
	v_lshrrev_b32_e32 v114, 16, v199
	v_mul_f16_sdwa v115, v197, v223 dst_sel:DWORD dst_unused:UNUSED_PAD src0_sel:DWORD src1_sel:WORD_1
	s_waitcnt vmcnt(2)
	v_mul_f16_sdwa v201, v203, v225 dst_sel:DWORD dst_unused:UNUSED_PAD src0_sel:DWORD src1_sel:WORD_1
	ds_write2_b32 v101, v116, v113 offset0:156 offset1:216
	v_mul_f16_sdwa v113, v196, v223 dst_sel:DWORD dst_unused:UNUSED_PAD src0_sel:DWORD src1_sel:WORD_1
	v_pack_b32_f16 v112, v112, v118
	s_waitcnt vmcnt(0)
	v_mul_f16_sdwa v116, v114, v227 dst_sel:DWORD dst_unused:UNUSED_PAD src0_sel:DWORD src1_sel:WORD_1
	v_lshrrev_b32_e32 v118, 16, v117
	v_fma_f16 v115, v196, v223, -v115
	v_lshrrev_b32_e32 v196, 16, v203
	v_fmac_f16_e32 v113, v197, v223
	v_mul_f16_sdwa v197, v199, v227 dst_sel:DWORD dst_unused:UNUSED_PAD src0_sel:DWORD src1_sel:WORD_1
	v_fma_f16 v116, v199, v227, -v116
	v_mul_f16_sdwa v198, v118, v226 dst_sel:DWORD dst_unused:UNUSED_PAD src0_sel:DWORD src1_sel:WORD_1
	v_mul_f16_sdwa v199, v117, v226 dst_sel:DWORD dst_unused:UNUSED_PAD src0_sel:DWORD src1_sel:WORD_1
	;; [unrolled: 1-line block ×3, first 2 shown]
	v_fmac_f16_e32 v197, v114, v227
	v_fmac_f16_e32 v201, v196, v225
	v_fma_f16 v114, v117, v226, -v198
	v_fmac_f16_e32 v199, v118, v226
	v_fma_f16 v117, v203, v225, -v200
	v_pack_b32_f16 v103, v103, v205
	v_pack_b32_f16 v104, v104, v208
	;; [unrolled: 1-line block ×6, first 2 shown]
	v_add_nc_u32_e32 v116, 0x1a00, v119
	v_pack_b32_f16 v117, v117, v201
	ds_write2_b32 v106, v112, v103 offset0:48 offset1:144
	ds_write2_b32 v105, v104, v113 offset0:76 offset1:136
	;; [unrolled: 1-line block ×4, first 2 shown]
	ds_write_b32 v119, v117 offset:8256
	s_and_saveexec_b32 s0, vcc_lo
	s_cbranch_execz .LBB0_9
; %bb.8:
	s_clause 0x9
	global_load_dword v103, v[93:94], off offset:720
	global_load_dword v93, v[93:94], off offset:1584
	;; [unrolled: 1-line block ×10, first 2 shown]
	v_add_nc_u32_e32 v91, 0x280, v119
	ds_read2_b32 v[89:90], v91 offset0:20 offset1:236
	s_waitcnt lgkmcnt(0)
	v_lshrrev_b32_e32 v92, 16, v89
	v_lshrrev_b32_e32 v98, 16, v90
	s_waitcnt vmcnt(9)
	v_mul_f16_sdwa v112, v92, v103 dst_sel:DWORD dst_unused:UNUSED_PAD src0_sel:DWORD src1_sel:WORD_1
	v_mul_f16_sdwa v113, v89, v103 dst_sel:DWORD dst_unused:UNUSED_PAD src0_sel:DWORD src1_sel:WORD_1
	s_waitcnt vmcnt(8)
	v_mul_f16_sdwa v114, v98, v93 dst_sel:DWORD dst_unused:UNUSED_PAD src0_sel:DWORD src1_sel:WORD_1
	v_mul_f16_sdwa v115, v90, v93 dst_sel:DWORD dst_unused:UNUSED_PAD src0_sel:DWORD src1_sel:WORD_1
	v_fma_f16 v89, v89, v103, -v112
	v_fmac_f16_e32 v113, v92, v103
	v_fma_f16 v90, v90, v93, -v114
	v_fmac_f16_e32 v115, v98, v93
	v_add_nc_u32_e32 v92, 0x900, v119
	v_pack_b32_f16 v89, v89, v113
	v_pack_b32_f16 v90, v90, v115
	ds_write2_b32 v91, v89, v90 offset0:20 offset1:236
	ds_read2_b32 v[89:90], v92 offset0:36 offset1:252
	s_waitcnt lgkmcnt(0)
	v_lshrrev_b32_e32 v91, 16, v89
	v_lshrrev_b32_e32 v93, 16, v90
	s_waitcnt vmcnt(7)
	v_mul_f16_sdwa v98, v89, v94 dst_sel:DWORD dst_unused:UNUSED_PAD src0_sel:DWORD src1_sel:WORD_1
	s_waitcnt vmcnt(6)
	v_mul_f16_sdwa v103, v90, v95 dst_sel:DWORD dst_unused:UNUSED_PAD src0_sel:DWORD src1_sel:WORD_1
	v_mul_f16_sdwa v112, v91, v94 dst_sel:DWORD dst_unused:UNUSED_PAD src0_sel:DWORD src1_sel:WORD_1
	v_mul_f16_sdwa v113, v93, v95 dst_sel:DWORD dst_unused:UNUSED_PAD src0_sel:DWORD src1_sel:WORD_1
	v_fmac_f16_e32 v98, v91, v94
	v_fmac_f16_e32 v103, v93, v95
	v_fma_f16 v89, v89, v94, -v112
	v_fma_f16 v90, v90, v95, -v113
	v_pack_b32_f16 v89, v89, v98
	v_pack_b32_f16 v90, v90, v103
	ds_write2_b32 v92, v89, v90 offset0:36 offset1:252
	ds_read2_b32 v[89:90], v99 offset0:20 offset1:236
	s_waitcnt lgkmcnt(0)
	v_lshrrev_b32_e32 v91, 16, v89
	v_lshrrev_b32_e32 v92, 16, v90
	s_waitcnt vmcnt(5)
	v_mul_f16_sdwa v93, v89, v96 dst_sel:DWORD dst_unused:UNUSED_PAD src0_sel:DWORD src1_sel:WORD_1
	s_waitcnt vmcnt(4)
	v_mul_f16_sdwa v94, v90, v104 dst_sel:DWORD dst_unused:UNUSED_PAD src0_sel:DWORD src1_sel:WORD_1
	v_mul_f16_sdwa v95, v91, v96 dst_sel:DWORD dst_unused:UNUSED_PAD src0_sel:DWORD src1_sel:WORD_1
	;; [unrolled: 1-line block ×3, first 2 shown]
	v_fmac_f16_e32 v93, v91, v96
	v_fmac_f16_e32 v94, v92, v104
	v_fma_f16 v89, v89, v96, -v95
	v_fma_f16 v90, v90, v104, -v98
	v_pack_b32_f16 v89, v89, v93
	v_pack_b32_f16 v90, v90, v94
	v_add_nc_u32_e32 v93, 0x1700, v119
	v_add_nc_u32_e32 v94, 0x1d80, v119
	ds_write2_b32 v99, v89, v90 offset0:20 offset1:236
	ds_read2_b32 v[89:90], v93 offset0:4 offset1:220
	ds_read2_b32 v[91:92], v94 offset0:20 offset1:236
	s_waitcnt lgkmcnt(1)
	v_lshrrev_b32_e32 v95, 16, v89
	s_waitcnt vmcnt(3)
	v_mul_f16_sdwa v96, v89, v106 dst_sel:DWORD dst_unused:UNUSED_PAD src0_sel:DWORD src1_sel:WORD_1
	v_lshrrev_b32_e32 v98, 16, v90
	s_waitcnt vmcnt(2)
	v_mul_f16_sdwa v103, v90, v110 dst_sel:DWORD dst_unused:UNUSED_PAD src0_sel:DWORD src1_sel:WORD_1
	s_waitcnt lgkmcnt(0)
	v_lshrrev_b32_e32 v104, 16, v91
	s_waitcnt vmcnt(1)
	v_mul_f16_sdwa v112, v91, v111 dst_sel:DWORD dst_unused:UNUSED_PAD src0_sel:DWORD src1_sel:WORD_1
	v_lshrrev_b32_e32 v113, 16, v92
	v_mul_f16_sdwa v115, v95, v106 dst_sel:DWORD dst_unused:UNUSED_PAD src0_sel:DWORD src1_sel:WORD_1
	v_fmac_f16_e32 v96, v95, v106
	v_mul_f16_sdwa v95, v98, v110 dst_sel:DWORD dst_unused:UNUSED_PAD src0_sel:DWORD src1_sel:WORD_1
	s_waitcnt vmcnt(0)
	v_mul_f16_sdwa v114, v92, v97 dst_sel:DWORD dst_unused:UNUSED_PAD src0_sel:DWORD src1_sel:WORD_1
	v_fmac_f16_e32 v103, v98, v110
	v_mul_f16_sdwa v98, v104, v111 dst_sel:DWORD dst_unused:UNUSED_PAD src0_sel:DWORD src1_sel:WORD_1
	v_fmac_f16_e32 v112, v104, v111
	v_mul_f16_sdwa v104, v113, v97 dst_sel:DWORD dst_unused:UNUSED_PAD src0_sel:DWORD src1_sel:WORD_1
	v_fma_f16 v89, v89, v106, -v115
	v_fma_f16 v90, v90, v110, -v95
	v_fmac_f16_e32 v114, v113, v97
	v_fma_f16 v91, v91, v111, -v98
	v_fma_f16 v92, v92, v97, -v104
	v_pack_b32_f16 v89, v89, v96
	v_pack_b32_f16 v90, v90, v103
	;; [unrolled: 1-line block ×4, first 2 shown]
	ds_write2_b32 v93, v89, v90 offset0:4 offset1:220
	ds_write2_b32 v94, v91, v92 offset0:20 offset1:236
.LBB0_9:
	s_or_b32 exec_lo, exec_lo, s0
	s_waitcnt lgkmcnt(0)
	s_barrier
	buffer_gl0_inv
	ds_read2_b32 v[117:118], v119 offset1:60
	ds_read2_b32 v[113:114], v119 offset0:120 offset1:216
	ds_read2_b32 v[115:116], v100 offset0:176 offset1:236
	;; [unrolled: 1-line block ×14, first 2 shown]
	s_and_saveexec_b32 s0, vcc_lo
	s_cbranch_execz .LBB0_11
; %bb.10:
	v_add_nc_u32_e32 v79, 0x280, v119
	v_add_nc_u32_e32 v80, 0x900, v119
	;; [unrolled: 1-line block ×3, first 2 shown]
	ds_read2_b32 v[83:84], v79 offset0:20 offset1:236
	v_add_nc_u32_e32 v79, 0x1700, v119
	ds_read2_b32 v[85:86], v80 offset0:36 offset1:252
	v_add_nc_u32_e32 v80, 0x1d80, v119
	ds_read2_b32 v[87:88], v81 offset0:20 offset1:236
	ds_read2_b32 v[81:82], v79 offset0:4 offset1:220
	;; [unrolled: 1-line block ×3, first 2 shown]
	s_waitcnt lgkmcnt(4)
	v_lshrrev_b32_e32 v193, 16, v83
	v_lshrrev_b32_e32 v192, 16, v84
	s_waitcnt lgkmcnt(3)
	v_lshrrev_b32_e32 v191, 16, v85
	v_lshrrev_b32_e32 v194, 16, v86
	;; [unrolled: 3-line block ×5, first 2 shown]
.LBB0_11:
	s_or_b32 exec_lo, exec_lo, s0
	s_waitcnt lgkmcnt(8)
	v_add_f16_e32 v189, v103, v101
	s_waitcnt lgkmcnt(6)
	v_add_f16_e32 v198, v115, v105
	v_sub_f16_sdwa v196, v115, v105 dst_sel:DWORD dst_unused:UNUSED_PAD src0_sel:WORD_1 src1_sel:WORD_1
	v_sub_f16_sdwa v197, v103, v101 dst_sel:DWORD dst_unused:UNUSED_PAD src0_sel:WORD_1 src1_sel:WORD_1
	v_sub_f16_e32 v199, v115, v103
	v_fma_f16 v200, -0.5, v189, v117
	v_sub_f16_e32 v189, v105, v101
	v_fma_f16 v203, -0.5, v198, v117
	v_pk_add_f16 v188, v117, v115
	v_lshrrev_b32_e32 v205, 16, v117
	v_fmamk_f16 v202, v196, 0xbb9c, v200
	v_fmac_f16_e32 v200, 0x3b9c, v196
	v_add_f16_e32 v117, v199, v189
	v_fmamk_f16 v199, v197, 0x3b9c, v203
	v_fmac_f16_e32 v203, 0xbb9c, v197
	v_add_f16_sdwa v201, v103, v101 dst_sel:DWORD dst_unused:UNUSED_PAD src0_sel:WORD_1 src1_sel:WORD_1
	v_fmac_f16_e32 v202, 0xb8b4, v197
	v_fmac_f16_e32 v200, 0x38b4, v197
	;; [unrolled: 1-line block ×4, first 2 shown]
	v_add_f16_sdwa v196, v115, v105 dst_sel:DWORD dst_unused:UNUSED_PAD src0_sel:WORD_1 src1_sel:WORD_1
	v_sub_f16_e32 v189, v115, v105
	v_fma_f16 v206, -0.5, v201, v205
	v_fmac_f16_e32 v202, 0x34f2, v117
	v_fmac_f16_e32 v200, 0x34f2, v117
	v_sub_f16_e32 v117, v101, v105
	v_sub_f16_e32 v198, v103, v115
	;; [unrolled: 1-line block ×3, first 2 shown]
	v_sub_f16_sdwa v201, v115, v103 dst_sel:DWORD dst_unused:UNUSED_PAD src0_sel:WORD_1 src1_sel:WORD_1
	v_sub_f16_sdwa v204, v105, v101 dst_sel:DWORD dst_unused:UNUSED_PAD src0_sel:WORD_1 src1_sel:WORD_1
	v_fmac_f16_e32 v205, -0.5, v196
	v_sub_f16_sdwa v115, v103, v115 dst_sel:DWORD dst_unused:UNUSED_PAD src0_sel:WORD_1 src1_sel:WORD_1
	v_sub_f16_sdwa v196, v101, v105 dst_sel:DWORD dst_unused:UNUSED_PAD src0_sel:WORD_1 src1_sel:WORD_1
	v_add_f16_e32 v117, v198, v117
	v_add_f16_e32 v198, v201, v204
	v_fmamk_f16 v209, v197, 0xbb9c, v205
	v_fmac_f16_e32 v205, 0x3b9c, v197
	v_add_f16_e32 v115, v115, v196
	s_waitcnt lgkmcnt(5)
	v_add_f16_e32 v196, v112, v94
	v_sub_f16_e32 v201, v94, v90
	v_sub_f16_e32 v204, v112, v92
	v_fmamk_f16 v208, v189, 0x3b9c, v206
	v_fmac_f16_e32 v206, 0xbb9c, v189
	v_fmac_f16_e32 v199, 0x34f2, v117
	;; [unrolled: 1-line block ×3, first 2 shown]
	v_add_f16_e32 v117, v92, v90
	v_fmac_f16_e32 v209, 0x38b4, v189
	v_fmac_f16_e32 v205, 0xb8b4, v189
	v_fma_f16 v207, -0.5, v196, v114
	v_add_f16_e32 v196, v204, v201
	v_sub_f16_e32 v204, v90, v94
	v_sub_f16_e32 v210, v92, v112
	v_fmac_f16_e32 v208, 0x38b4, v197
	v_fmac_f16_e32 v206, 0xb8b4, v197
	v_fma_f16 v197, -0.5, v117, v114
	v_fmac_f16_e32 v209, 0x34f2, v115
	v_fmac_f16_e32 v205, 0x34f2, v115
	v_pk_add_f16 v115, v114, v112
	v_add_f16_sdwa v211, v92, v90 dst_sel:DWORD dst_unused:UNUSED_PAD src0_sel:WORD_1 src1_sel:WORD_1
	v_lshrrev_b32_e32 v114, 16, v114
	v_add_f16_e32 v204, v210, v204
	v_add_f16_sdwa v210, v112, v94 dst_sel:DWORD dst_unused:UNUSED_PAD src0_sel:WORD_1 src1_sel:WORD_1
	v_sub_f16_e32 v213, v92, v90
	v_fmac_f16_e32 v208, 0x34f2, v198
	v_fma_f16 v211, -0.5, v211, v114
	v_sub_f16_sdwa v117, v112, v94 dst_sel:DWORD dst_unused:UNUSED_PAD src0_sel:WORD_1 src1_sel:WORD_1
	v_fmac_f16_e32 v114, -0.5, v210
	v_fmac_f16_e32 v206, 0x34f2, v198
	v_sub_f16_sdwa v198, v92, v90 dst_sel:DWORD dst_unused:UNUSED_PAD src0_sel:WORD_1 src1_sel:WORD_1
	v_sub_f16_e32 v212, v112, v94
	v_sub_f16_sdwa v214, v112, v92 dst_sel:DWORD dst_unused:UNUSED_PAD src0_sel:WORD_1 src1_sel:WORD_1
	v_fmamk_f16 v216, v213, 0xbb9c, v114
	v_sub_f16_sdwa v112, v92, v112 dst_sel:DWORD dst_unused:UNUSED_PAD src0_sel:WORD_1 src1_sel:WORD_1
	v_sub_f16_sdwa v217, v90, v94 dst_sel:DWORD dst_unused:UNUSED_PAD src0_sel:WORD_1 src1_sel:WORD_1
	v_fmamk_f16 v189, v117, 0xbb9c, v197
	v_fmamk_f16 v201, v198, 0x3b9c, v207
	;; [unrolled: 1-line block ×3, first 2 shown]
	v_sub_f16_sdwa v215, v94, v90 dst_sel:DWORD dst_unused:UNUSED_PAD src0_sel:WORD_1 src1_sel:WORD_1
	v_fmac_f16_e32 v216, 0x38b4, v212
	v_add_f16_e32 v112, v112, v217
	v_fmac_f16_e32 v211, 0xbb9c, v212
	v_fmac_f16_e32 v189, 0xb8b4, v198
	;; [unrolled: 1-line block ×6, first 2 shown]
	v_add_f16_e32 v214, v214, v215
	v_fmac_f16_e32 v216, 0x34f2, v112
	v_fmac_f16_e32 v211, 0xb8b4, v213
	;; [unrolled: 1-line block ×7, first 2 shown]
	v_mul_f16_e32 v213, 0xbb9c, v216
	v_fmac_f16_e32 v197, 0x38b4, v198
	v_fmac_f16_e32 v211, 0x34f2, v214
	v_fmac_f16_e32 v207, 0x38b4, v117
	v_fmac_f16_e32 v114, 0x34f2, v112
	v_mul_f16_e32 v212, 0xb8b4, v210
	v_fmac_f16_e32 v213, 0x34f2, v201
	v_fmac_f16_e32 v197, 0x34f2, v196
	v_mul_f16_e32 v214, 0xb8b4, v211
	v_mul_f16_e32 v217, 0x38b4, v189
	;; [unrolled: 1-line block ×4, first 2 shown]
	v_fmac_f16_e32 v207, 0x34f2, v204
	v_mul_f16_e32 v215, 0xbb9c, v114
	v_fmac_f16_e32 v212, 0x3a79, v189
	v_add_f16_e32 v117, v199, v213
	v_fmac_f16_e32 v214, 0xba79, v197
	v_mul_f16_e32 v218, 0xb4f2, v114
	v_fmac_f16_e32 v217, 0x3a79, v210
	v_fmac_f16_e32 v216, 0x3b9c, v201
	;; [unrolled: 1-line block ×3, first 2 shown]
	v_add_f16_e32 v210, v104, v102
	v_sub_f16_e32 v201, v199, v213
	v_add_f16_e32 v213, v116, v106
	v_fmac_f16_e32 v215, 0xb4f2, v207
	v_add_f16_e32 v112, v202, v212
	v_add_f16_e32 v114, v200, v214
	v_fmac_f16_e32 v218, 0x3b9c, v207
	v_add_f16_e32 v197, v206, v211
	v_sub_f16_e32 v198, v202, v212
	v_fma_f16 v210, -0.5, v210, v118
	v_sub_f16_sdwa v212, v116, v106 dst_sel:DWORD dst_unused:UNUSED_PAD src0_sel:WORD_1 src1_sel:WORD_1
	v_sub_f16_e32 v200, v200, v214
	v_sub_f16_sdwa v214, v104, v102 dst_sel:DWORD dst_unused:UNUSED_PAD src0_sel:WORD_1 src1_sel:WORD_1
	v_sub_f16_e32 v206, v206, v211
	v_fma_f16 v211, -0.5, v213, v118
	v_add_f16_e32 v196, v203, v215
	v_add_f16_e32 v189, v208, v217
	;; [unrolled: 1-line block ×4, first 2 shown]
	v_sub_f16_e32 v199, v203, v215
	v_sub_f16_e32 v202, v208, v217
	;; [unrolled: 1-line block ×3, first 2 shown]
	v_fmamk_f16 v209, v212, 0xbb9c, v210
	v_sub_f16_e32 v205, v205, v218
	v_pk_add_f16 v208, v118, v116
	v_sub_f16_e32 v213, v106, v102
	v_sub_f16_e32 v215, v116, v104
	v_fmac_f16_e32 v210, 0x3b9c, v212
	v_fmamk_f16 v216, v214, 0x3b9c, v211
	v_sub_f16_e32 v217, v102, v106
	v_sub_f16_e32 v218, v104, v116
	v_add_f16_sdwa v219, v104, v102 dst_sel:DWORD dst_unused:UNUSED_PAD src0_sel:WORD_1 src1_sel:WORD_1
	v_lshrrev_b32_e32 v118, 16, v118
	v_fmac_f16_e32 v211, 0xbb9c, v214
	v_add_f16_sdwa v220, v116, v106 dst_sel:DWORD dst_unused:UNUSED_PAD src0_sel:WORD_1 src1_sel:WORD_1
	v_fmac_f16_e32 v209, 0xb8b4, v214
	v_add_f16_e32 v213, v215, v213
	v_fmac_f16_e32 v210, 0x38b4, v214
	v_fmac_f16_e32 v216, 0xb8b4, v212
	v_add_f16_e32 v215, v218, v217
	v_fma_f16 v217, -0.5, v219, v118
	v_sub_f16_e32 v218, v116, v106
	v_sub_f16_e32 v214, v104, v102
	v_fmac_f16_e32 v211, 0x38b4, v212
	v_fmac_f16_e32 v118, -0.5, v220
	v_fmac_f16_e32 v209, 0x34f2, v213
	v_fmac_f16_e32 v210, 0x34f2, v213
	;; [unrolled: 1-line block ×3, first 2 shown]
	v_fmamk_f16 v213, v218, 0x3b9c, v217
	v_sub_f16_sdwa v219, v116, v104 dst_sel:DWORD dst_unused:UNUSED_PAD src0_sel:WORD_1 src1_sel:WORD_1
	v_sub_f16_sdwa v221, v106, v102 dst_sel:DWORD dst_unused:UNUSED_PAD src0_sel:WORD_1 src1_sel:WORD_1
	v_fmac_f16_e32 v217, 0xbb9c, v218
	v_fmac_f16_e32 v211, 0x34f2, v215
	v_fmamk_f16 v215, v214, 0xbb9c, v118
	v_sub_f16_sdwa v116, v104, v116 dst_sel:DWORD dst_unused:UNUSED_PAD src0_sel:WORD_1 src1_sel:WORD_1
	v_sub_f16_sdwa v220, v102, v106 dst_sel:DWORD dst_unused:UNUSED_PAD src0_sel:WORD_1 src1_sel:WORD_1
	v_fmac_f16_e32 v118, 0x3b9c, v214
	v_fmac_f16_e32 v213, 0x38b4, v214
	v_add_f16_e32 v212, v219, v221
	v_fmac_f16_e32 v217, 0xb8b4, v214
	s_waitcnt lgkmcnt(1)
	v_add_f16_e32 v219, v99, v97
	v_fmac_f16_e32 v215, 0x38b4, v218
	s_waitcnt lgkmcnt(0)
	v_sub_f16_e32 v222, v95, v97
	v_sub_f16_e32 v223, v107, v99
	v_add_f16_e32 v116, v116, v220
	v_add_f16_e32 v220, v107, v95
	v_fmac_f16_e32 v118, 0xb8b4, v218
	v_fmac_f16_e32 v213, 0x34f2, v212
	;; [unrolled: 1-line block ×3, first 2 shown]
	v_fma_f16 v212, -0.5, v219, v109
	v_add_f16_e32 v218, v223, v222
	v_fmac_f16_e32 v215, 0x34f2, v116
	v_fma_f16 v220, -0.5, v220, v109
	v_fmac_f16_e32 v118, 0x34f2, v116
	v_pk_add_f16 v116, v109, v107
	v_add_f16_sdwa v223, v99, v97 dst_sel:DWORD dst_unused:UNUSED_PAD src0_sel:WORD_1 src1_sel:WORD_1
	v_lshrrev_b32_e32 v109, 16, v109
	v_sub_f16_e32 v224, v97, v95
	v_sub_f16_e32 v225, v99, v107
	v_add_f16_sdwa v226, v107, v95 dst_sel:DWORD dst_unused:UNUSED_PAD src0_sel:WORD_1 src1_sel:WORD_1
	v_sub_f16_e32 v227, v107, v95
	v_fma_f16 v223, -0.5, v223, v109
	v_sub_f16_sdwa v219, v107, v95 dst_sel:DWORD dst_unused:UNUSED_PAD src0_sel:WORD_1 src1_sel:WORD_1
	v_add_f16_e32 v224, v225, v224
	v_sub_f16_e32 v225, v99, v97
	v_fmac_f16_e32 v109, -0.5, v226
	v_fmamk_f16 v226, v227, 0x3b9c, v223
	v_sub_f16_sdwa v228, v107, v99 dst_sel:DWORD dst_unused:UNUSED_PAD src0_sel:WORD_1 src1_sel:WORD_1
	v_sub_f16_sdwa v229, v95, v97 dst_sel:DWORD dst_unused:UNUSED_PAD src0_sel:WORD_1 src1_sel:WORD_1
	v_fmamk_f16 v214, v219, 0xbb9c, v212
	v_sub_f16_sdwa v221, v99, v97 dst_sel:DWORD dst_unused:UNUSED_PAD src0_sel:WORD_1 src1_sel:WORD_1
	v_fmamk_f16 v230, v225, 0xbb9c, v109
	v_sub_f16_sdwa v107, v99, v107 dst_sel:DWORD dst_unused:UNUSED_PAD src0_sel:WORD_1 src1_sel:WORD_1
	v_sub_f16_sdwa v231, v97, v95 dst_sel:DWORD dst_unused:UNUSED_PAD src0_sel:WORD_1 src1_sel:WORD_1
	v_fmac_f16_e32 v226, 0x38b4, v225
	v_fmac_f16_e32 v109, 0x3b9c, v225
	v_add_f16_e32 v228, v228, v229
	v_fmac_f16_e32 v223, 0xbb9c, v227
	v_fmac_f16_e32 v214, 0xb8b4, v221
	;; [unrolled: 1-line block ×3, first 2 shown]
	v_fmamk_f16 v222, v221, 0x3b9c, v220
	v_fmac_f16_e32 v220, 0xbb9c, v221
	v_fmac_f16_e32 v230, 0x38b4, v227
	v_add_f16_e32 v107, v107, v231
	v_fmac_f16_e32 v109, 0xb8b4, v227
	v_fmac_f16_e32 v226, 0x34f2, v228
	;; [unrolled: 1-line block ×8, first 2 shown]
	v_mul_f16_e32 v107, 0xb8b4, v226
	v_fmac_f16_e32 v212, 0x38b4, v221
	v_fmac_f16_e32 v223, 0x34f2, v228
	;; [unrolled: 1-line block ×4, first 2 shown]
	v_mul_f16_e32 v224, 0xbb9c, v109
	v_fmac_f16_e32 v107, 0x3a79, v214
	v_fmac_f16_e32 v212, 0x34f2, v218
	v_mul_f16_e32 v225, 0xb8b4, v223
	v_mul_f16_e32 v214, 0x38b4, v214
	;; [unrolled: 1-line block ×4, first 2 shown]
	v_fmac_f16_e32 v224, 0xb4f2, v220
	v_mul_f16_e32 v109, 0xb4f2, v109
	v_fmac_f16_e32 v225, 0xba79, v212
	v_mul_f16_e32 v223, 0xba79, v223
	v_fmac_f16_e32 v214, 0x3a79, v226
	v_fmac_f16_e32 v228, 0x3b9c, v222
	;; [unrolled: 1-line block ×3, first 2 shown]
	v_add_f16_e32 v227, v211, v224
	v_fmac_f16_e32 v109, 0x3b9c, v220
	v_add_f16_e32 v220, v210, v225
	v_fmac_f16_e32 v223, 0x38b4, v212
	v_add_f16_e32 v212, v213, v214
	v_add_f16_e32 v222, v215, v228
	v_add_f16_e32 v229, v91, v89
	v_sub_f16_e32 v211, v211, v224
	v_sub_f16_e32 v210, v210, v225
	;; [unrolled: 1-line block ×6, first 2 shown]
	v_add_f16_e32 v228, v111, v93
	v_add_f16_e32 v218, v209, v107
	;; [unrolled: 1-line block ×4, first 2 shown]
	v_sub_f16_e32 v209, v209, v107
	v_sub_f16_e32 v216, v216, v219
	v_fma_f16 v107, -0.5, v229, v113
	v_sub_f16_sdwa v219, v111, v93 dst_sel:DWORD dst_unused:UNUSED_PAD src0_sel:WORD_1 src1_sel:WORD_1
	v_sub_f16_sdwa v215, v91, v89 dst_sel:DWORD dst_unused:UNUSED_PAD src0_sel:WORD_1 src1_sel:WORD_1
	v_sub_f16_e32 v217, v217, v223
	v_add_f16_e32 v223, v225, v224
	v_fma_f16 v224, -0.5, v228, v113
	v_add_f16_e32 v226, v118, v109
	v_sub_f16_e32 v109, v118, v109
	v_fmamk_f16 v118, v219, 0xbb9c, v107
	v_fmac_f16_e32 v107, 0x3b9c, v219
	v_fmamk_f16 v229, v215, 0x3b9c, v224
	v_fmac_f16_e32 v224, 0xbb9c, v215
	v_add_f16_sdwa v225, v91, v89 dst_sel:DWORD dst_unused:UNUSED_PAD src0_sel:WORD_1 src1_sel:WORD_1
	v_fmac_f16_e32 v118, 0xb8b4, v215
	v_fmac_f16_e32 v107, 0x38b4, v215
	v_lshrrev_b32_e32 v228, 16, v113
	v_fmac_f16_e32 v229, 0xb8b4, v219
	v_sub_f16_e32 v231, v89, v93
	v_sub_f16_e32 v232, v91, v111
	v_fmac_f16_e32 v224, 0x38b4, v219
	v_add_f16_sdwa v219, v111, v93 dst_sel:DWORD dst_unused:UNUSED_PAD src0_sel:WORD_1 src1_sel:WORD_1
	v_fmac_f16_e32 v118, 0x34f2, v223
	v_fmac_f16_e32 v107, 0x34f2, v223
	v_fma_f16 v223, -0.5, v225, v228
	v_sub_f16_e32 v233, v91, v89
	v_sub_f16_sdwa v234, v111, v91 dst_sel:DWORD dst_unused:UNUSED_PAD src0_sel:WORD_1 src1_sel:WORD_1
	v_sub_f16_sdwa v235, v93, v89 dst_sel:DWORD dst_unused:UNUSED_PAD src0_sel:WORD_1 src1_sel:WORD_1
	v_add_f16_e32 v231, v232, v231
	v_fmac_f16_e32 v228, -0.5, v219
	v_pk_add_f16 v113, v113, v111
	v_sub_f16_e32 v225, v111, v93
	v_add_f16_e32 v232, v234, v235
	v_fmac_f16_e32 v229, 0x34f2, v231
	v_fmac_f16_e32 v224, 0x34f2, v231
	v_fmamk_f16 v231, v233, 0xbb9c, v228
	v_sub_f16_sdwa v111, v91, v111 dst_sel:DWORD dst_unused:UNUSED_PAD src0_sel:WORD_1 src1_sel:WORD_1
	v_sub_f16_sdwa v234, v89, v93 dst_sel:DWORD dst_unused:UNUSED_PAD src0_sel:WORD_1 src1_sel:WORD_1
	v_fmac_f16_e32 v228, 0x3b9c, v233
	v_fmamk_f16 v215, v225, 0x3b9c, v223
	v_fmac_f16_e32 v223, 0xbb9c, v225
	v_add_f16_e32 v219, v100, v98
	v_fmac_f16_e32 v231, 0x38b4, v225
	v_add_f16_e32 v111, v111, v234
	v_sub_f16_e32 v234, v96, v98
	v_sub_f16_e32 v236, v108, v100
	v_fmac_f16_e32 v228, 0xb8b4, v225
	v_add_f16_e32 v225, v108, v96
	v_fma_f16 v219, -0.5, v219, v110
	v_fmac_f16_e32 v231, 0x34f2, v111
	v_add_f16_e32 v234, v236, v234
	v_fmac_f16_e32 v228, 0x34f2, v111
	v_pk_add_f16 v111, v110, v108
	v_fma_f16 v225, -0.5, v225, v110
	v_add_f16_sdwa v236, v100, v98 dst_sel:DWORD dst_unused:UNUSED_PAD src0_sel:WORD_1 src1_sel:WORD_1
	v_lshrrev_b32_e32 v110, 16, v110
	v_add_f16_sdwa v240, v108, v96 dst_sel:DWORD dst_unused:UNUSED_PAD src0_sel:WORD_1 src1_sel:WORD_1
	v_sub_f16_e32 v238, v98, v96
	v_sub_f16_e32 v239, v100, v108
	;; [unrolled: 1-line block ×3, first 2 shown]
	v_fma_f16 v236, -0.5, v236, v110
	v_sub_f16_e32 v242, v100, v98
	v_fmac_f16_e32 v110, -0.5, v240
	v_fmac_f16_e32 v215, 0x38b4, v233
	v_fmac_f16_e32 v223, 0xb8b4, v233
	v_sub_f16_sdwa v235, v108, v96 dst_sel:DWORD dst_unused:UNUSED_PAD src0_sel:WORD_1 src1_sel:WORD_1
	v_sub_f16_sdwa v233, v100, v98 dst_sel:DWORD dst_unused:UNUSED_PAD src0_sel:WORD_1 src1_sel:WORD_1
	v_add_f16_e32 v238, v239, v238
	v_fmamk_f16 v239, v241, 0x3b9c, v236
	v_sub_f16_sdwa v240, v108, v100 dst_sel:DWORD dst_unused:UNUSED_PAD src0_sel:WORD_1 src1_sel:WORD_1
	v_sub_f16_sdwa v243, v96, v98 dst_sel:DWORD dst_unused:UNUSED_PAD src0_sel:WORD_1 src1_sel:WORD_1
	v_fmamk_f16 v244, v242, 0xbb9c, v110
	v_sub_f16_sdwa v108, v100, v108 dst_sel:DWORD dst_unused:UNUSED_PAD src0_sel:WORD_1 src1_sel:WORD_1
	v_sub_f16_sdwa v245, v98, v96 dst_sel:DWORD dst_unused:UNUSED_PAD src0_sel:WORD_1 src1_sel:WORD_1
	v_fmac_f16_e32 v236, 0xbb9c, v241
	v_fmac_f16_e32 v215, 0x34f2, v232
	;; [unrolled: 1-line block ×3, first 2 shown]
	v_fmamk_f16 v232, v235, 0xbb9c, v219
	v_fmac_f16_e32 v219, 0x3b9c, v235
	v_fmamk_f16 v237, v233, 0x3b9c, v225
	v_fmac_f16_e32 v239, 0x38b4, v242
	v_add_f16_e32 v240, v240, v243
	v_fmac_f16_e32 v110, 0x3b9c, v242
	v_fmac_f16_e32 v244, 0x38b4, v241
	v_add_f16_e32 v108, v108, v245
	v_fmac_f16_e32 v236, 0xb8b4, v242
	v_fmac_f16_e32 v232, 0xb8b4, v233
	v_fmac_f16_e32 v219, 0x38b4, v233
	v_fmac_f16_e32 v237, 0xb8b4, v235
	v_fmac_f16_e32 v225, 0xbb9c, v233
	v_fmac_f16_e32 v110, 0xb8b4, v241
	v_fmac_f16_e32 v239, 0x34f2, v240
	v_fmac_f16_e32 v244, 0x34f2, v108
	v_fmac_f16_e32 v236, 0x34f2, v240
	v_pk_add_f16 v103, v188, v103
	v_pk_add_f16 v92, v115, v92
	v_fmac_f16_e32 v232, 0x34f2, v234
	v_fmac_f16_e32 v237, 0x34f2, v238
	;; [unrolled: 1-line block ×4, first 2 shown]
	v_mul_f16_e32 v108, 0xb8b4, v239
	v_mul_f16_e32 v233, 0xbb9c, v244
	v_fmac_f16_e32 v219, 0x34f2, v234
	v_mul_f16_e32 v240, 0xb8b4, v236
	v_pk_add_f16 v101, v103, v101
	v_pk_add_f16 v90, v92, v90
	v_fmac_f16_e32 v225, 0x34f2, v238
	v_mul_f16_e32 v235, 0xbb9c, v110
	v_fmac_f16_e32 v108, 0x3a79, v232
	v_fmac_f16_e32 v233, 0x34f2, v237
	v_mul_f16_e32 v110, 0xb4f2, v110
	v_fmac_f16_e32 v240, 0xba79, v219
	v_pk_add_f16 v92, v101, v105
	v_pk_add_f16 v90, v90, v94
	;; [unrolled: 1-line block ×4, first 2 shown]
	v_fmac_f16_e32 v235, 0xb4f2, v225
	v_add_f16_e32 v234, v118, v108
	v_add_f16_e32 v238, v229, v233
	v_fmac_f16_e32 v110, 0x3b9c, v225
	v_add_f16_e32 v225, v107, v240
	v_sub_f16_e32 v118, v118, v108
	v_sub_f16_e32 v188, v229, v233
	;; [unrolled: 1-line block ×3, first 2 shown]
	v_pk_add_f16 v103, v92, v90
	v_pack_b32_f16 v108, v196, v207
	v_pack_b32_f16 v107, v117, v204
	;; [unrolled: 1-line block ×3, first 2 shown]
	v_pk_add_f16 v94, v94, v102
	v_pk_add_f16 v97, v99, v97
	v_mul_f16_e32 v232, 0x38b4, v232
	v_mul_f16_e32 v242, 0x34f2, v244
	s_barrier
	buffer_gl0_inv
	ds_write2_b64 v164, v[103:104], v[107:108] offset1:1
	v_pk_add_f16 v102, v92, v90 neg_lo:[0,1] neg_hi:[0,1]
	v_pack_b32_f16 v104, v201, v203
	v_pack_b32_f16 v103, v198, v202
	;; [unrolled: 1-line block ×3, first 2 shown]
	v_pk_add_f16 v99, v113, v91
	v_pk_add_f16 v100, v111, v100
	v_mul_f16_e32 v236, 0xba79, v236
	v_pk_add_f16 v92, v94, v106
	v_pk_add_f16 v97, v97, v95
	v_pack_b32_f16 v95, v200, v206
	v_pack_b32_f16 v94, v199, v205
	v_fmac_f16_e32 v232, 0x3a79, v239
	v_fmac_f16_e32 v242, 0x3b9c, v237
	ds_write2_b64 v164, v[101:102], v[103:104] offset0:2 offset1:3
	ds_write_b64 v164, v[94:95] offset:32
	v_pk_add_f16 v89, v99, v89
	v_pk_add_f16 v94, v100, v98
	v_fmac_f16_e32 v236, 0x38b4, v219
	v_pk_add_f16 v90, v92, v97
	v_pack_b32_f16 v106, v227, v226
	v_pack_b32_f16 v105, v221, v222
	;; [unrolled: 1-line block ×3, first 2 shown]
	v_add_f16_e32 v241, v224, v235
	v_add_f16_e32 v237, v215, v232
	;; [unrolled: 1-line block ×4, first 2 shown]
	v_pk_add_f16 v99, v89, v93
	v_pk_add_f16 v100, v94, v96
	v_add_f16_e32 v115, v223, v236
	v_sub_f16_e32 v215, v215, v232
	v_sub_f16_e32 v231, v231, v242
	;; [unrolled: 1-line block ×5, first 2 shown]
	ds_write2_b64 v165, v[90:91], v[105:106] offset1:1
	v_pk_add_f16 v90, v92, v97 neg_lo:[0,1] neg_hi:[0,1]
	v_pack_b32_f16 v92, v216, v214
	v_pack_b32_f16 v91, v209, v213
	;; [unrolled: 1-line block ×5, first 2 shown]
	v_pk_add_f16 v95, v99, v100
	v_pack_b32_f16 v98, v241, v239
	v_pack_b32_f16 v97, v238, v219
	;; [unrolled: 1-line block ×3, first 2 shown]
	v_pk_add_f16 v100, v99, v100 neg_lo:[0,1] neg_hi:[0,1]
	v_pack_b32_f16 v102, v188, v231
	v_pack_b32_f16 v101, v118, v215
	;; [unrolled: 1-line block ×5, first 2 shown]
	ds_write2_b64 v165, v[89:90], v[91:92] offset0:2 offset1:3
	ds_write_b64 v165, v[93:94] offset:32
	ds_write2_b64 v166, v[95:96], v[97:98] offset1:1
	ds_write2_b64 v166, v[99:100], v[101:102] offset0:2 offset1:3
	ds_write_b64 v166, v[103:104] offset:32
	s_and_saveexec_b32 s0, vcc_lo
	s_cbranch_execz .LBB0_13
; %bb.12:
	v_sub_f16_e32 v90, v191, v190
	v_sub_f16_e32 v91, v155, v154
	v_add_f16_e32 v93, v195, v156
	v_sub_f16_e32 v99, v194, v195
	v_sub_f16_e32 v100, v157, v156
	;; [unrolled: 1-line block ×3, first 2 shown]
	v_add_f16_e32 v90, v90, v91
	v_add_f16_e32 v91, v191, v155
	v_sub_f16_e32 v107, v154, v155
	v_add_f16_e32 v108, v194, v157
	v_add_f16_e32 v94, v88, v82
	v_sub_f16_e32 v96, v86, v80
	v_fma_f16 v93, -0.5, v93, v192
	v_sub_f16_e32 v102, v88, v82
	v_add_f16_e32 v99, v99, v100
	v_sub_f16_e32 v100, v87, v81
	v_fma_f16 v91, -0.5, v91, v193
	v_add_f16_e32 v106, v106, v107
	v_fma_f16 v107, -0.5, v108, v192
	v_add_f16_e32 v89, v190, v154
	v_sub_f16_e32 v92, v85, v79
	v_fma_f16 v94, -0.5, v94, v84
	v_sub_f16_e32 v98, v194, v157
	v_fmamk_f16 v101, v96, 0xbb9c, v93
	v_fmamk_f16 v109, v100, 0x3b9c, v91
	v_add_f16_e32 v110, v86, v80
	v_fmamk_f16 v113, v102, 0x3b9c, v107
	v_fmac_f16_e32 v107, 0xbb9c, v102
	v_fmac_f16_e32 v91, 0xbb9c, v100
	;; [unrolled: 1-line block ×3, first 2 shown]
	v_fma_f16 v89, -0.5, v89, v193
	v_sub_f16_e32 v95, v86, v88
	v_sub_f16_e32 v103, v80, v82
	v_fmamk_f16 v104, v98, 0x3b9c, v94
	v_sub_f16_e32 v105, v195, v156
	v_fmac_f16_e32 v101, 0xb8b4, v102
	v_fmac_f16_e32 v109, 0xb8b4, v92
	v_fma_f16 v108, -0.5, v110, v84
	v_sub_f16_e32 v110, v195, v194
	v_sub_f16_e32 v112, v156, v157
	v_fmac_f16_e32 v113, 0xb8b4, v96
	v_fmac_f16_e32 v107, 0x38b4, v96
	;; [unrolled: 1-line block ×4, first 2 shown]
	v_add_f16_e32 v96, v193, v191
	v_fmac_f16_e32 v93, 0x38b4, v102
	v_fmamk_f16 v97, v92, 0xbb9c, v89
	v_add_f16_e32 v95, v95, v103
	v_fmac_f16_e32 v104, 0x38b4, v105
	v_fmac_f16_e32 v101, 0x34f2, v99
	v_sub_f16_e32 v114, v88, v86
	v_sub_f16_e32 v115, v82, v80
	v_fmamk_f16 v116, v105, 0xbb9c, v108
	v_add_f16_e32 v110, v110, v112
	v_fmac_f16_e32 v109, 0x34f2, v106
	v_fmac_f16_e32 v108, 0x3b9c, v105
	;; [unrolled: 1-line block ×4, first 2 shown]
	v_add_f16_e32 v105, v192, v194
	v_fmac_f16_e32 v89, 0x3b9c, v92
	v_add_f16_e32 v92, v96, v190
	v_fmac_f16_e32 v93, 0x34f2, v99
	v_add_f16_e32 v99, v87, v81
	v_add_f16_e32 v106, v85, v79
	v_fmac_f16_e32 v97, 0xb8b4, v100
	v_fmac_f16_e32 v104, 0x34f2, v95
	v_add_f16_e32 v112, v114, v115
	v_fmac_f16_e32 v116, 0x38b4, v98
	v_fmac_f16_e32 v113, 0x34f2, v110
	;; [unrolled: 1-line block ×5, first 2 shown]
	v_add_f16_e32 v95, v105, v195
	v_fmac_f16_e32 v89, 0x38b4, v100
	v_add_f16_e32 v92, v92, v154
	v_fma_f16 v99, -0.5, v99, v83
	v_sub_f16_e32 v110, v191, v155
	v_sub_f16_e32 v115, v190, v154
	v_fma_f16 v106, -0.5, v106, v83
	v_add_f16_e32 v83, v83, v85
	v_add_f16_e32 v84, v84, v86
	v_mul_f16_e32 v103, 0xba79, v101
	v_fmac_f16_e32 v97, 0x34f2, v90
	v_fmac_f16_e32 v116, 0x34f2, v112
	;; [unrolled: 1-line block ×3, first 2 shown]
	v_add_f16_e32 v95, v95, v156
	v_fmac_f16_e32 v89, 0x34f2, v90
	v_add_f16_e32 v90, v92, v155
	v_sub_f16_e32 v112, v85, v87
	v_sub_f16_e32 v117, v79, v81
	v_fmamk_f16 v118, v110, 0x3b9c, v99
	v_sub_f16_e32 v154, v87, v85
	v_sub_f16_e32 v155, v81, v79
	v_fmamk_f16 v156, v115, 0xbb9c, v106
	v_mul_f16_e32 v101, 0xb8b4, v101
	v_fmac_f16_e32 v106, 0x3b9c, v115
	v_fmac_f16_e32 v99, 0xbb9c, v110
	v_add_f16_e32 v83, v83, v87
	v_add_f16_e32 v84, v84, v88
	v_fmac_f16_e32 v103, 0x38b4, v104
	v_mul_f16_e32 v114, 0xb4f2, v113
	v_mul_f16_e32 v98, 0x34f2, v107
	;; [unrolled: 1-line block ×3, first 2 shown]
	v_add_f16_e32 v112, v112, v117
	v_add_f16_e32 v117, v154, v155
	v_fmac_f16_e32 v156, 0x38b4, v110
	v_fmac_f16_e32 v101, 0xba79, v104
	v_mul_f16_e32 v104, 0xbb9c, v113
	v_fmac_f16_e32 v106, 0xb8b4, v110
	v_mul_f16_e32 v85, 0xbb9c, v107
	;; [unrolled: 2-line block ×3, first 2 shown]
	v_add_f16_e32 v81, v83, v81
	v_add_f16_e32 v82, v84, v82
	v_fmac_f16_e32 v118, 0x38b4, v115
	v_fmac_f16_e32 v114, 0x3b9c, v116
	v_fmac_f16_e32 v98, 0x3b9c, v108
	v_fmac_f16_e32 v96, 0x3a79, v93
	v_add_f16_e32 v92, v95, v157
	v_fmac_f16_e32 v156, 0x34f2, v117
	v_fmac_f16_e32 v104, 0xb4f2, v116
	;; [unrolled: 1-line block ×6, first 2 shown]
	v_add_f16_e32 v79, v81, v79
	v_add_f16_e32 v80, v82, v80
	v_fmac_f16_e32 v118, 0x34f2, v112
	v_sub_f16_e32 v100, v91, v98
	v_sub_f16_e32 v102, v89, v96
	;; [unrolled: 1-line block ×5, first 2 shown]
	v_add_f16_e32 v81, v109, v114
	v_add_f16_e32 v82, v91, v98
	;; [unrolled: 1-line block ×8, first 2 shown]
	v_sub_f16_e32 v111, v97, v103
	v_sub_f16_e32 v94, v79, v80
	v_add_f16_e32 v97, v97, v103
	v_add_f16_e32 v90, v118, v101
	v_sub_f16_e32 v95, v109, v114
	v_sub_f16_e32 v87, v118, v101
	;; [unrolled: 1-line block ×3, first 2 shown]
	v_lshlrev_b32_e32 v96, 2, v153
	v_pack_b32_f16 v80, v91, v81
	v_pack_b32_f16 v79, v85, v82
	v_pack_b32_f16 v82, v86, v84
	v_pack_b32_f16 v81, v92, v89
	v_pack_b32_f16 v84, v83, v100
	v_pack_b32_f16 v83, v88, v102
	v_pack_b32_f16 v85, v90, v97
	v_pack_b32_f16 v86, v94, v105
	v_pack_b32_f16 v88, v87, v111
	v_pack_b32_f16 v87, v93, v95
	ds_write2_b64 v96, v[81:82], v[79:80] offset1:1
	ds_write2_b64 v96, v[85:86], v[83:84] offset0:2 offset1:3
	ds_write_b64 v96, v[87:88] offset:32
.LBB0_13:
	s_or_b32 exec_lo, exec_lo, s0
	v_add_nc_u32_e32 v89, 0x400, v119
	v_add_nc_u32_e32 v88, 0xa00, v119
	;; [unrolled: 1-line block ×5, first 2 shown]
	s_waitcnt lgkmcnt(0)
	s_barrier
	buffer_gl0_inv
	ds_read2_b32 v[83:84], v119 offset1:60
	ds_read2_b32 v[99:100], v89 offset0:104 offset1:164
	ds_read2_b32 v[101:102], v88 offset0:80 offset1:140
	;; [unrolled: 1-line block ×5, first 2 shown]
	v_add_nc_u32_e32 v95, 0x600, v119
	v_add_nc_u32_e32 v92, 0xc00, v119
	;; [unrolled: 1-line block ×3, first 2 shown]
	ds_read2_b32 v[81:82], v119 offset0:120 offset1:180
	v_add_nc_u32_e32 v94, 0x200, v119
	ds_read2_b32 v[109:110], v95 offset0:96 offset1:156
	ds_read2_b32 v[111:112], v92 offset0:72 offset1:132
	ds_read2_b32 v[113:114], v85 offset0:176 offset1:236
	ds_read2_b32 v[115:116], v87 offset0:24 offset1:84
	ds_read2_b32 v[117:118], v90 offset0:128 offset1:188
	v_add_nc_u32_e32 v93, 0x800, v119
	v_add_nc_u32_e32 v86, 0x1e00, v119
	ds_read2_b32 v[79:80], v94 offset0:112 offset1:172
	ds_read2_b32 v[153:154], v93 offset0:88 offset1:148
	;; [unrolled: 1-line block ×6, first 2 shown]
	s_waitcnt lgkmcnt(0)
	s_barrier
	v_lshrrev_b32_e32 v192, 16, v99
	v_lshrrev_b32_e32 v193, 16, v101
	;; [unrolled: 1-line block ×3, first 2 shown]
	v_mul_f16_sdwa v223, v16, v99 dst_sel:DWORD dst_unused:UNUSED_PAD src0_sel:WORD_1 src1_sel:DWORD
	v_lshrrev_b32_e32 v195, 16, v105
	v_mul_f16_sdwa v221, v16, v192 dst_sel:DWORD dst_unused:UNUSED_PAD src0_sel:WORD_1 src1_sel:DWORD
	v_mul_f16_sdwa v225, v17, v193 dst_sel:DWORD dst_unused:UNUSED_PAD src0_sel:WORD_1 src1_sel:DWORD
	v_lshrrev_b32_e32 v196, 16, v107
	v_lshrrev_b32_e32 v197, 16, v100
	;; [unrolled: 1-line block ×3, first 2 shown]
	v_fmac_f16_e32 v221, v16, v99
	v_mul_f16_sdwa v99, v17, v101 dst_sel:DWORD dst_unused:UNUSED_PAD src0_sel:WORD_1 src1_sel:DWORD
	v_fma_f16 v16, v16, v192, -v223
	v_mul_f16_sdwa v192, v18, v194 dst_sel:DWORD dst_unused:UNUSED_PAD src0_sel:WORD_1 src1_sel:DWORD
	v_fmac_f16_e32 v225, v17, v101
	v_mul_f16_sdwa v101, v18, v103 dst_sel:DWORD dst_unused:UNUSED_PAD src0_sel:WORD_1 src1_sel:DWORD
	v_fma_f16 v17, v17, v193, -v99
	v_mul_f16_sdwa v99, v19, v195 dst_sel:DWORD dst_unused:UNUSED_PAD src0_sel:WORD_1 src1_sel:DWORD
	;; [unrolled: 4-line block ×4, first 2 shown]
	v_lshrrev_b32_e32 v199, 16, v104
	v_lshrrev_b32_e32 v200, 16, v106
	v_fmac_f16_e32 v101, v163, v107
	v_mul_f16_sdwa v107, v20, v100 dst_sel:DWORD dst_unused:UNUSED_PAD src0_sel:WORD_1 src1_sel:DWORD
	v_fma_f16 v105, v163, v196, -v105
	v_mul_f16_sdwa v163, v21, v198 dst_sel:DWORD dst_unused:UNUSED_PAD src0_sel:WORD_1 src1_sel:DWORD
	v_fmac_f16_e32 v103, v20, v100
	v_mul_f16_sdwa v100, v21, v102 dst_sel:DWORD dst_unused:UNUSED_PAD src0_sel:WORD_1 src1_sel:DWORD
	v_lshrrev_b32_e32 v201, 16, v108
	v_fma_f16 v20, v20, v197, -v107
	v_mul_f16_sdwa v107, v22, v199 dst_sel:DWORD dst_unused:UNUSED_PAD src0_sel:WORD_1 src1_sel:DWORD
	v_fmac_f16_e32 v163, v21, v102
	v_mul_f16_sdwa v102, v22, v104 dst_sel:DWORD dst_unused:UNUSED_PAD src0_sel:WORD_1 src1_sel:DWORD
	v_fma_f16 v21, v21, v198, -v100
	v_mul_f16_sdwa v100, v23, v200 dst_sel:DWORD dst_unused:UNUSED_PAD src0_sel:WORD_1 src1_sel:DWORD
	v_lshrrev_b32_e32 v203, 16, v109
	v_lshrrev_b32_e32 v204, 16, v111
	v_fmac_f16_e32 v107, v22, v104
	v_mul_f16_sdwa v104, v23, v106 dst_sel:DWORD dst_unused:UNUSED_PAD src0_sel:WORD_1 src1_sel:DWORD
	v_fma_f16 v22, v22, v199, -v102
	v_mul_f16_sdwa v102, v162, v201 dst_sel:DWORD dst_unused:UNUSED_PAD src0_sel:WORD_1 src1_sel:DWORD
	v_fmac_f16_e32 v100, v23, v106
	v_mul_f16_sdwa v106, v162, v108 dst_sel:DWORD dst_unused:UNUSED_PAD src0_sel:WORD_1 src1_sel:DWORD
	v_lshrrev_b32_e32 v205, 16, v113
	v_fma_f16 v23, v23, v200, -v104
	v_mul_f16_sdwa v104, v12, v203 dst_sel:DWORD dst_unused:UNUSED_PAD src0_sel:WORD_1 src1_sel:DWORD
	v_fmac_f16_e32 v102, v162, v108
	v_mul_f16_sdwa v108, v12, v109 dst_sel:DWORD dst_unused:UNUSED_PAD src0_sel:WORD_1 src1_sel:DWORD
	v_fma_f16 v106, v162, v201, -v106
	v_mul_f16_sdwa v162, v13, v204 dst_sel:DWORD dst_unused:UNUSED_PAD src0_sel:WORD_1 src1_sel:DWORD
	;; [unrolled: 15-line block ×5, first 2 shown]
	v_lshrrev_b32_e32 v215, 16, v164
	v_lshrrev_b32_e32 v216, 16, v188
	v_fmac_f16_e32 v112, v160, v118
	v_mul_f16_sdwa v118, v4, v153 dst_sel:DWORD dst_unused:UNUSED_PAD src0_sel:WORD_1 src1_sel:DWORD
	v_fma_f16 v116, v160, v212, -v116
	v_mul_f16_sdwa v160, v5, v214 dst_sel:DWORD dst_unused:UNUSED_PAD src0_sel:WORD_1 src1_sel:DWORD
	v_fmac_f16_e32 v114, v4, v153
	v_mul_f16_sdwa v153, v5, v155 dst_sel:DWORD dst_unused:UNUSED_PAD src0_sel:WORD_1 src1_sel:DWORD
	v_lshrrev_b32_e32 v217, 16, v190
	v_lshrrev_b32_e32 v218, 16, v154
	v_fma_f16 v118, v4, v213, -v118
	v_mul_f16_sdwa v193, v6, v215 dst_sel:DWORD dst_unused:UNUSED_PAD src0_sel:WORD_1 src1_sel:DWORD
	v_fmac_f16_e32 v160, v5, v155
	v_mul_f16_sdwa v4, v6, v164 dst_sel:DWORD dst_unused:UNUSED_PAD src0_sel:WORD_1 src1_sel:DWORD
	v_fma_f16 v5, v5, v214, -v153
	v_mul_f16_sdwa v153, v7, v216 dst_sel:DWORD dst_unused:UNUSED_PAD src0_sel:WORD_1 src1_sel:DWORD
	v_mul_f16_sdwa v155, v7, v188 dst_sel:DWORD dst_unused:UNUSED_PAD src0_sel:WORD_1 src1_sel:DWORD
	v_lshrrev_b32_e32 v219, 16, v156
	v_lshrrev_b32_e32 v220, 16, v165
	v_fmac_f16_e32 v193, v6, v164
	v_fma_f16 v6, v6, v215, -v4
	v_mul_f16_sdwa v164, v159, v217 dst_sel:DWORD dst_unused:UNUSED_PAD src0_sel:WORD_1 src1_sel:DWORD
	v_fmac_f16_e32 v153, v7, v188
	v_mul_f16_sdwa v188, v159, v190 dst_sel:DWORD dst_unused:UNUSED_PAD src0_sel:WORD_1 src1_sel:DWORD
	v_fma_f16 v7, v7, v216, -v155
	v_mul_f16_sdwa v4, v0, v218 dst_sel:DWORD dst_unused:UNUSED_PAD src0_sel:WORD_1 src1_sel:DWORD
	v_mul_f16_sdwa v155, v0, v154 dst_sel:DWORD dst_unused:UNUSED_PAD src0_sel:WORD_1 src1_sel:DWORD
	v_lshrrev_b32_e32 v222, 16, v189
	v_fmac_f16_e32 v164, v159, v190
	v_fma_f16 v159, v159, v217, -v188
	v_mul_f16_sdwa v188, v1, v219 dst_sel:DWORD dst_unused:UNUSED_PAD src0_sel:WORD_1 src1_sel:DWORD
	v_fmac_f16_e32 v4, v0, v154
	v_mul_f16_sdwa v154, v1, v156 dst_sel:DWORD dst_unused:UNUSED_PAD src0_sel:WORD_1 src1_sel:DWORD
	v_fma_f16 v0, v0, v218, -v155
	v_mul_f16_sdwa v155, v2, v220 dst_sel:DWORD dst_unused:UNUSED_PAD src0_sel:WORD_1 src1_sel:DWORD
	v_lshrrev_b32_e32 v224, 16, v191
	v_fmac_f16_e32 v188, v1, v156
	v_mul_f16_sdwa v156, v2, v165 dst_sel:DWORD dst_unused:UNUSED_PAD src0_sel:WORD_1 src1_sel:DWORD
	v_fma_f16 v1, v1, v219, -v154
	v_mul_f16_sdwa v154, v3, v222 dst_sel:DWORD dst_unused:UNUSED_PAD src0_sel:WORD_1 src1_sel:DWORD
	v_fmac_f16_e32 v155, v2, v165
	v_mul_f16_sdwa v165, v3, v189 dst_sel:DWORD dst_unused:UNUSED_PAD src0_sel:WORD_1 src1_sel:DWORD
	v_fma_f16 v2, v2, v220, -v156
	v_mul_f16_sdwa v156, v158, v224 dst_sel:DWORD dst_unused:UNUSED_PAD src0_sel:WORD_1 src1_sel:DWORD
	v_fmac_f16_e32 v154, v3, v189
	v_mul_f16_sdwa v189, v158, v191 dst_sel:DWORD dst_unused:UNUSED_PAD src0_sel:WORD_1 src1_sel:DWORD
	v_fma_f16 v3, v3, v222, -v165
	v_add_f16_e32 v165, v225, v99
	v_lshrrev_b32_e32 v157, 16, v83
	v_fmac_f16_e32 v156, v158, v191
	v_add_f16_e32 v190, v83, v225
	v_fma_f16 v158, v158, v224, -v189
	v_add_f16_e32 v189, v17, v19
	v_fma_f16 v83, -0.5, v165, v83
	v_sub_f16_e32 v165, v17, v19
	v_add_f16_e32 v17, v157, v17
	v_add_f16_e32 v190, v190, v99
	v_fmac_f16_e32 v157, -0.5, v189
	v_sub_f16_e32 v99, v225, v99
	v_fmamk_f16 v189, v165, 0xbaee, v83
	v_fmac_f16_e32 v83, 0x3aee, v165
	v_add_f16_e32 v165, v18, v105
	v_add_f16_e32 v191, v192, v101
	;; [unrolled: 1-line block ×4, first 2 shown]
	v_fmamk_f16 v19, v99, 0x3aee, v157
	v_fmac_f16_e32 v16, -0.5, v165
	v_sub_f16_e32 v165, v192, v101
	v_add_f16_e32 v192, v221, v192
	v_fmac_f16_e32 v221, -0.5, v191
	v_sub_f16_e32 v18, v18, v105
	v_fmac_f16_e32 v157, 0xbaee, v99
	v_fmamk_f16 v99, v165, 0x3aee, v16
	v_fmac_f16_e32 v16, 0xbaee, v165
	v_add_f16_e32 v105, v194, v105
	v_fmamk_f16 v165, v18, 0xbaee, v221
	v_fmac_f16_e32 v221, 0x3aee, v18
	v_mul_f16_e32 v18, 0xbaee, v99
	v_mul_f16_e32 v191, 0xbaee, v16
	v_mul_f16_e32 v99, 0.5, v99
	v_mul_f16_e32 v16, -0.5, v16
	v_add_f16_e32 v195, v17, v105
	v_sub_f16_e32 v17, v17, v105
	v_add_f16_e32 v105, v163, v100
	v_fmac_f16_e32 v99, 0x3aee, v165
	v_fmac_f16_e32 v16, 0x3aee, v221
	v_lshrrev_b32_e32 v166, 16, v84
	v_fmac_f16_e32 v18, 0.5, v165
	v_add_f16_e32 v101, v192, v101
	v_add_f16_e32 v196, v19, v99
	;; [unrolled: 1-line block ×3, first 2 shown]
	v_sub_f16_e32 v19, v19, v99
	v_add_f16_e32 v99, v84, v163
	v_sub_f16_e32 v16, v157, v16
	v_add_f16_e32 v157, v21, v23
	v_fmac_f16_e32 v84, -0.5, v105
	v_sub_f16_e32 v105, v21, v23
	v_add_f16_e32 v21, v166, v21
	v_add_f16_e32 v165, v189, v18
	v_fmac_f16_e32 v166, -0.5, v157
	v_sub_f16_e32 v18, v189, v18
	v_fmamk_f16 v157, v105, 0xbaee, v84
	v_fmac_f16_e32 v84, 0x3aee, v105
	v_add_f16_e32 v105, v22, v106
	v_add_f16_e32 v99, v99, v100
	v_sub_f16_e32 v100, v163, v100
	v_add_f16_e32 v163, v107, v102
	v_add_f16_e32 v189, v20, v22
	v_fmac_f16_e32 v20, -0.5, v105
	v_sub_f16_e32 v105, v107, v102
	v_add_f16_e32 v21, v21, v23
	v_fmamk_f16 v23, v100, 0x3aee, v166
	v_add_f16_e32 v107, v103, v107
	v_fmac_f16_e32 v103, -0.5, v163
	v_sub_f16_e32 v22, v22, v106
	v_fmac_f16_e32 v166, 0xbaee, v100
	v_fmamk_f16 v100, v105, 0x3aee, v20
	v_fmac_f16_e32 v20, 0xbaee, v105
	v_add_f16_e32 v102, v107, v102
	v_fmamk_f16 v105, v22, 0xbaee, v103
	v_fmac_f16_e32 v103, 0x3aee, v22
	v_mul_f16_e32 v22, 0xbaee, v100
	v_mul_f16_e32 v100, 0.5, v100
	v_mul_f16_e32 v107, 0xbaee, v20
	v_add_f16_e32 v163, v99, v102
	v_sub_f16_e32 v99, v99, v102
	v_add_f16_e32 v102, v162, v109
	v_fmac_f16_e32 v100, 0x3aee, v105
	v_lshrrev_b32_e32 v202, 16, v81
	v_add_f16_e32 v192, v190, v101
	v_sub_f16_e32 v101, v190, v101
	v_add_f16_e32 v106, v189, v106
	v_fmac_f16_e32 v107, -0.5, v103
	v_add_f16_e32 v190, v23, v100
	v_sub_f16_e32 v23, v23, v100
	v_add_f16_e32 v100, v81, v162
	v_fma_f16 v81, -0.5, v102, v81
	v_sub_f16_e32 v102, v13, v15
	v_mul_f16_e32 v20, -0.5, v20
	v_fmac_f16_e32 v22, 0.5, v105
	v_add_f16_e32 v105, v84, v107
	v_add_f16_e32 v189, v21, v106
	v_sub_f16_e32 v84, v84, v107
	v_sub_f16_e32 v21, v21, v106
	v_add_f16_e32 v106, v13, v15
	v_fmamk_f16 v107, v102, 0xbaee, v81
	v_fmac_f16_e32 v81, 0x3aee, v102
	v_add_f16_e32 v102, v14, v115
	v_fmac_f16_e32 v20, 0x3aee, v103
	v_add_f16_e32 v103, v157, v22
	v_sub_f16_e32 v22, v157, v22
	v_add_f16_e32 v100, v100, v109
	v_add_f16_e32 v13, v202, v13
	v_fmac_f16_e32 v202, -0.5, v106
	v_sub_f16_e32 v106, v162, v109
	v_add_f16_e32 v109, v108, v111
	v_add_f16_e32 v157, v12, v14
	v_fmac_f16_e32 v12, -0.5, v102
	v_sub_f16_e32 v102, v108, v111
	v_add_f16_e32 v13, v13, v15
	v_fmamk_f16 v15, v106, 0x3aee, v202
	v_add_f16_e32 v108, v104, v108
	v_fmac_f16_e32 v104, -0.5, v109
	v_sub_f16_e32 v14, v14, v115
	v_fmac_f16_e32 v202, 0xbaee, v106
	v_fmamk_f16 v106, v102, 0x3aee, v12
	v_fmac_f16_e32 v12, 0xbaee, v102
	v_add_f16_e32 v102, v108, v111
	v_fmamk_f16 v108, v14, 0xbaee, v104
	v_fmac_f16_e32 v104, 0x3aee, v14
	v_mul_f16_e32 v14, 0xbaee, v106
	v_mul_f16_e32 v106, 0.5, v106
	v_mul_f16_e32 v109, 0xbaee, v12
	v_add_f16_e32 v111, v157, v115
	v_add_f16_e32 v115, v100, v102
	v_sub_f16_e32 v100, v100, v102
	v_fmac_f16_e32 v106, 0x3aee, v108
	v_add_f16_e32 v102, v161, v110
	v_lshrrev_b32_e32 v98, 16, v82
	v_mul_f16_e32 v12, -0.5, v12
	v_fmac_f16_e32 v14, 0.5, v108
	v_fmac_f16_e32 v109, -0.5, v104
	v_add_f16_e32 v162, v15, v106
	v_sub_f16_e32 v15, v15, v106
	v_add_f16_e32 v106, v82, v161
	v_fmac_f16_e32 v82, -0.5, v102
	v_sub_f16_e32 v102, v9, v11
	v_fmac_f16_e32 v12, 0x3aee, v104
	v_add_f16_e32 v104, v107, v14
	v_add_f16_e32 v108, v81, v109
	v_sub_f16_e32 v14, v107, v14
	v_sub_f16_e32 v81, v81, v109
	v_add_f16_e32 v107, v9, v11
	v_fmamk_f16 v109, v102, 0xbaee, v82
	v_fmac_f16_e32 v82, 0x3aee, v102
	v_add_f16_e32 v102, v10, v116
	v_add_f16_e32 v157, v13, v111
	v_sub_f16_e32 v13, v13, v111
	v_add_f16_e32 v106, v106, v110
	v_add_f16_e32 v9, v98, v9
	v_fmac_f16_e32 v98, -0.5, v107
	v_sub_f16_e32 v107, v161, v110
	v_add_f16_e32 v110, v117, v112
	v_add_f16_e32 v111, v8, v10
	v_fmac_f16_e32 v8, -0.5, v102
	v_sub_f16_e32 v102, v117, v112
	v_add_f16_e32 v9, v9, v11
	v_fmamk_f16 v11, v107, 0x3aee, v98
	v_add_f16_e32 v117, v113, v117
	v_fmac_f16_e32 v113, -0.5, v110
	v_sub_f16_e32 v10, v10, v116
	v_fmac_f16_e32 v98, 0xbaee, v107
	v_fmamk_f16 v107, v102, 0x3aee, v8
	v_fmac_f16_e32 v8, 0xbaee, v102
	v_add_f16_e32 v102, v117, v112
	v_fmamk_f16 v110, v10, 0xbaee, v113
	v_fmac_f16_e32 v113, 0x3aee, v10
	v_mul_f16_e32 v10, 0xbaee, v107
	v_mul_f16_e32 v107, 0.5, v107
	v_mul_f16_e32 v112, 0xbaee, v8
	v_add_f16_e32 v111, v111, v116
	v_mul_f16_e32 v8, -0.5, v8
	v_add_f16_e32 v116, v106, v102
	v_fmac_f16_e32 v107, 0x3aee, v110
	v_sub_f16_e32 v102, v106, v102
	v_add_f16_e32 v106, v160, v153
	v_lshrrev_b32_e32 v97, 16, v79
	v_fmac_f16_e32 v10, 0.5, v110
	v_fmac_f16_e32 v8, 0x3aee, v113
	v_add_f16_e32 v161, v11, v107
	v_sub_f16_e32 v11, v11, v107
	v_add_f16_e32 v107, v79, v160
	v_fma_f16 v79, -0.5, v106, v79
	v_sub_f16_e32 v106, v5, v7
	v_fmac_f16_e32 v112, -0.5, v113
	v_add_f16_e32 v110, v109, v10
	v_add_f16_e32 v198, v98, v8
	v_sub_f16_e32 v10, v109, v10
	v_sub_f16_e32 v8, v98, v8
	v_add_f16_e32 v98, v5, v7
	v_fmamk_f16 v109, v106, 0xbaee, v79
	v_fmac_f16_e32 v79, 0x3aee, v106
	v_add_f16_e32 v106, v6, v159
	v_add_f16_e32 v113, v82, v112
	;; [unrolled: 1-line block ×3, first 2 shown]
	v_sub_f16_e32 v82, v82, v112
	v_sub_f16_e32 v9, v9, v111
	v_add_f16_e32 v5, v97, v5
	v_fmac_f16_e32 v97, -0.5, v98
	v_sub_f16_e32 v98, v160, v153
	v_add_f16_e32 v111, v193, v164
	v_add_f16_e32 v112, v118, v6
	v_fmac_f16_e32 v118, -0.5, v106
	v_sub_f16_e32 v106, v193, v164
	v_add_f16_e32 v107, v107, v153
	v_add_f16_e32 v5, v5, v7
	v_fmamk_f16 v7, v98, 0x3aee, v97
	v_add_f16_e32 v153, v114, v193
	v_fmac_f16_e32 v114, -0.5, v111
	v_sub_f16_e32 v6, v6, v159
	v_fmac_f16_e32 v97, 0xbaee, v98
	v_fmamk_f16 v98, v106, 0x3aee, v118
	v_fmac_f16_e32 v118, 0xbaee, v106
	v_add_f16_e32 v106, v153, v164
	v_fmamk_f16 v111, v6, 0xbaee, v114
	v_fmac_f16_e32 v114, 0x3aee, v6
	v_mul_f16_e32 v6, 0xbaee, v98
	v_mul_f16_e32 v98, 0.5, v98
	v_add_f16_e32 v112, v112, v159
	v_add_f16_e32 v159, v107, v106
	v_sub_f16_e32 v106, v107, v106
	v_add_f16_e32 v107, v188, v154
	v_fmac_f16_e32 v98, 0x3aee, v111
	v_lshrrev_b32_e32 v96, 16, v80
	v_mul_f16_e32 v153, 0xbaee, v118
	v_mul_f16_e32 v118, -0.5, v118
	v_fmac_f16_e32 v6, 0.5, v111
	v_add_f16_e32 v164, v7, v98
	v_sub_f16_e32 v7, v7, v98
	v_add_f16_e32 v98, v80, v188
	v_fmac_f16_e32 v80, -0.5, v107
	v_sub_f16_e32 v107, v1, v3
	v_fmac_f16_e32 v153, -0.5, v114
	v_fmac_f16_e32 v118, 0x3aee, v114
	v_add_f16_e32 v111, v109, v6
	v_add_f16_e32 v160, v5, v112
	v_sub_f16_e32 v6, v109, v6
	v_sub_f16_e32 v5, v5, v112
	v_add_f16_e32 v109, v1, v3
	v_fmamk_f16 v112, v107, 0xbaee, v80
	v_fmac_f16_e32 v80, 0x3aee, v107
	v_add_f16_e32 v107, v2, v158
	v_add_f16_e32 v114, v79, v153
	;; [unrolled: 1-line block ×3, first 2 shown]
	v_sub_f16_e32 v79, v79, v153
	v_sub_f16_e32 v97, v97, v118
	v_add_f16_e32 v1, v96, v1
	v_fmac_f16_e32 v96, -0.5, v109
	v_sub_f16_e32 v109, v188, v154
	v_add_f16_e32 v118, v155, v156
	v_add_f16_e32 v153, v0, v2
	v_fmac_f16_e32 v0, -0.5, v107
	v_sub_f16_e32 v107, v155, v156
	v_add_f16_e32 v98, v98, v154
	v_add_f16_e32 v1, v1, v3
	v_fmamk_f16 v3, v109, 0x3aee, v96
	v_add_f16_e32 v154, v4, v155
	v_fmac_f16_e32 v4, -0.5, v118
	v_sub_f16_e32 v2, v2, v158
	v_fmac_f16_e32 v96, 0xbaee, v109
	v_fmamk_f16 v109, v107, 0x3aee, v0
	v_fmac_f16_e32 v0, 0xbaee, v107
	v_add_f16_e32 v107, v154, v156
	v_fmamk_f16 v118, v2, 0xbaee, v4
	v_fmac_f16_e32 v4, 0x3aee, v2
	v_fmac_f16_e32 v191, -0.5, v221
	v_mul_f16_e32 v154, 0xbaee, v0
	v_mul_f16_e32 v0, -0.5, v0
	v_mul_f16_e32 v2, 0xbaee, v109
	v_mul_f16_e32 v109, 0.5, v109
	v_add_f16_e32 v194, v83, v191
	v_sub_f16_e32 v83, v83, v191
	v_fmac_f16_e32 v0, 0x3aee, v4
	v_add_f16_e32 v155, v98, v107
	v_fmac_f16_e32 v109, 0x3aee, v118
	v_sub_f16_e32 v98, v98, v107
	v_pack_b32_f16 v107, v165, v196
	v_add_f16_e32 v188, v96, v0
	v_sub_f16_e32 v0, v96, v0
	v_pack_b32_f16 v96, v192, v195
	v_add_f16_e32 v191, v166, v20
	v_add_f16_e32 v153, v153, v158
	;; [unrolled: 1-line block ×3, first 2 shown]
	v_sub_f16_e32 v3, v3, v109
	v_pack_b32_f16 v109, v194, v197
	v_pack_b32_f16 v17, v101, v17
	v_sub_f16_e32 v20, v166, v20
	v_pack_b32_f16 v18, v18, v19
	v_pack_b32_f16 v16, v83, v16
	v_add_f16_e32 v166, v202, v12
	v_sub_f16_e32 v12, v202, v12
	buffer_gl0_inv
	ds_write2_b32 v168, v96, v107 offset1:10
	ds_write2_b32 v168, v109, v17 offset0:20 offset1:30
	ds_write2_b32 v168, v18, v16 offset0:40 offset1:50
	v_pack_b32_f16 v16, v163, v189
	v_pack_b32_f16 v17, v103, v190
	;; [unrolled: 1-line block ×4, first 2 shown]
	v_fmac_f16_e32 v2, 0.5, v118
	v_pack_b32_f16 v21, v22, v23
	v_pack_b32_f16 v20, v84, v20
	v_fmac_f16_e32 v154, -0.5, v4
	v_pack_b32_f16 v22, v115, v157
	v_pack_b32_f16 v23, v104, v162
	;; [unrolled: 1-line block ×4, first 2 shown]
	ds_write2_b32 v169, v16, v17 offset1:10
	ds_write2_b32 v169, v18, v19 offset0:20 offset1:30
	ds_write2_b32 v169, v21, v20 offset0:40 offset1:50
	ds_write2_b32 v170, v22, v23 offset1:10
	ds_write2_b32 v170, v83, v13 offset0:20 offset1:30
	v_pack_b32_f16 v13, v14, v15
	v_pack_b32_f16 v12, v81, v12
	;; [unrolled: 1-line block ×4, first 2 shown]
	v_add_f16_e32 v4, v112, v2
	v_add_f16_e32 v156, v1, v153
	v_pack_b32_f16 v16, v113, v198
	v_pack_b32_f16 v9, v102, v9
	v_add_f16_e32 v118, v80, v154
	v_sub_f16_e32 v1, v1, v153
	v_pack_b32_f16 v10, v10, v11
	v_pack_b32_f16 v8, v82, v8
	v_sub_f16_e32 v2, v112, v2
	v_sub_f16_e32 v80, v80, v154
	v_pack_b32_f16 v11, v159, v160
	v_pack_b32_f16 v17, v111, v164
	ds_write2_b32 v170, v13, v12 offset0:40 offset1:50
	ds_write2_b32 v172, v14, v15 offset1:10
	ds_write2_b32 v172, v16, v9 offset0:20 offset1:30
	ds_write2_b32 v172, v10, v8 offset0:40 offset1:50
	ds_write2_b32 v173, v11, v17 offset1:10
	v_pack_b32_f16 v8, v114, v193
	v_pack_b32_f16 v5, v106, v5
	;; [unrolled: 1-line block ×10, first 2 shown]
	ds_write2_b32 v173, v8, v5 offset0:20 offset1:30
	ds_write2_b32 v173, v6, v7 offset0:40 offset1:50
	ds_write2_b32 v175, v9, v4 offset1:10
	ds_write2_b32 v175, v10, v1 offset0:20 offset1:30
	ds_write2_b32 v175, v2, v0 offset0:40 offset1:50
	s_waitcnt lgkmcnt(0)
	s_barrier
	buffer_gl0_inv
	ds_read2_b32 v[9:10], v119 offset1:60
	ds_read2_b32 v[7:8], v89 offset0:104 offset1:164
	ds_read2_b32 v[11:12], v88 offset0:80 offset1:140
	;; [unrolled: 1-line block ×17, first 2 shown]
	s_waitcnt lgkmcnt(0)
	s_barrier
	buffer_gl0_inv
	s_mov_b32 s4, 0xc901e574
	s_mov_b32 s5, 0x3f3e573a
	s_mul_i32 s3, s9, 0x6c0
	v_lshrrev_b32_e32 v23, 16, v9
	v_lshrrev_b32_e32 v106, 16, v7
	;; [unrolled: 1-line block ×5, first 2 shown]
	v_mul_f16_sdwa v175, v24, v7 dst_sel:DWORD dst_unused:UNUSED_PAD src0_sel:WORD_1 src1_sel:DWORD
	v_mul_f16_sdwa v172, v24, v106 dst_sel:DWORD dst_unused:UNUSED_PAD src0_sel:WORD_1 src1_sel:DWORD
	v_mul_f16_sdwa v189, v25, v107 dst_sel:DWORD dst_unused:UNUSED_PAD src0_sel:WORD_1 src1_sel:DWORD
	v_lshrrev_b32_e32 v110, 16, v17
	v_lshrrev_b32_e32 v112, 16, v8
	v_fma_f16 v106, v24, v106, -v175
	v_fmac_f16_e32 v172, v24, v7
	v_mul_f16_sdwa v7, v25, v11 dst_sel:DWORD dst_unused:UNUSED_PAD src0_sel:WORD_1 src1_sel:DWORD
	v_mul_f16_sdwa v175, v26, v108 dst_sel:DWORD dst_unused:UNUSED_PAD src0_sel:WORD_1 src1_sel:DWORD
	v_fmac_f16_e32 v189, v25, v11
	v_mul_f16_sdwa v11, v26, v13 dst_sel:DWORD dst_unused:UNUSED_PAD src0_sel:WORD_1 src1_sel:DWORD
	v_mul_f16_sdwa v190, v27, v109 dst_sel:DWORD dst_unused:UNUSED_PAD src0_sel:WORD_1 src1_sel:DWORD
	v_fma_f16 v107, v25, v107, -v7
	v_mul_f16_sdwa v7, v27, v15 dst_sel:DWORD dst_unused:UNUSED_PAD src0_sel:WORD_1 src1_sel:DWORD
	v_lshrrev_b32_e32 v113, 16, v12
	v_lshrrev_b32_e32 v114, 16, v14
	v_fmac_f16_e32 v175, v26, v13
	v_fma_f16 v11, v26, v108, -v11
	v_mul_f16_sdwa v13, v167, v110 dst_sel:DWORD dst_unused:UNUSED_PAD src0_sel:WORD_1 src1_sel:DWORD
	v_fmac_f16_e32 v190, v27, v15
	v_mul_f16_sdwa v15, v167, v17 dst_sel:DWORD dst_unused:UNUSED_PAD src0_sel:WORD_1 src1_sel:DWORD
	v_fma_f16 v108, v27, v109, -v7
	v_mul_f16_sdwa v109, v24, v112 dst_sel:DWORD dst_unused:UNUSED_PAD src0_sel:WORD_1 src1_sel:DWORD
	v_mul_f16_sdwa v7, v24, v8 dst_sel:DWORD dst_unused:UNUSED_PAD src0_sel:WORD_1 src1_sel:DWORD
	v_lshrrev_b32_e32 v115, 16, v16
	v_lshrrev_b32_e32 v116, 16, v18
	v_fmac_f16_e32 v13, v167, v17
	v_fma_f16 v15, v167, v110, -v15
	v_mul_f16_sdwa v17, v25, v113 dst_sel:DWORD dst_unused:UNUSED_PAD src0_sel:WORD_1 src1_sel:DWORD
	v_fmac_f16_e32 v109, v24, v8
	v_mul_f16_sdwa v8, v25, v12 dst_sel:DWORD dst_unused:UNUSED_PAD src0_sel:WORD_1 src1_sel:DWORD
	v_fma_f16 v24, v24, v112, -v7
	v_mul_f16_sdwa v110, v26, v114 dst_sel:DWORD dst_unused:UNUSED_PAD src0_sel:WORD_1 src1_sel:DWORD
	;; [unrolled: 10-line block ×11, first 2 shown]
	v_mul_f16_sdwa v102, v28, v97 dst_sel:DWORD dst_unused:UNUSED_PAD src0_sel:WORD_1 src1_sel:DWORD
	v_lshrrev_b32_e32 v173, 16, v103
	v_fmac_f16_e32 v100, v174, v104
	v_fma_f16 v104, v174, v166, -v8
	v_mul_f16_sdwa v115, v29, v169 dst_sel:DWORD dst_unused:UNUSED_PAD src0_sel:WORD_1 src1_sel:DWORD
	v_fmac_f16_e32 v7, v28, v97
	v_mul_f16_sdwa v97, v29, v99 dst_sel:DWORD dst_unused:UNUSED_PAD src0_sel:WORD_1 src1_sel:DWORD
	v_fma_f16 v8, v28, v168, -v102
	v_mul_f16_sdwa v28, v30, v170 dst_sel:DWORD dst_unused:UNUSED_PAD src0_sel:WORD_1 src1_sel:DWORD
	v_fmac_f16_e32 v115, v29, v99
	v_mul_f16_sdwa v99, v30, v101 dst_sel:DWORD dst_unused:UNUSED_PAD src0_sel:WORD_1 src1_sel:DWORD
	;; [unrolled: 4-line block ×3, first 2 shown]
	v_lshrrev_b32_e32 v188, 16, v105
	v_fma_f16 v30, v30, v170, -v99
	v_fmac_f16_e32 v97, v31, v103
	v_add_f16_e32 v103, v9, v189
	v_fma_f16 v31, v31, v173, -v101
	v_add_f16_e32 v101, v189, v190
	v_mul_f16_sdwa v99, v171, v188 dst_sel:DWORD dst_unused:UNUSED_PAD src0_sel:WORD_1 src1_sel:DWORD
	v_mul_f16_sdwa v102, v171, v105 dst_sel:DWORD dst_unused:UNUSED_PAD src0_sel:WORD_1 src1_sel:DWORD
	v_add_f16_e32 v118, v175, v13
	v_add_f16_e32 v153, v106, v11
	v_fma_f16 v9, -0.5, v101, v9
	v_sub_f16_e32 v101, v107, v108
	v_fmac_f16_e32 v99, v171, v105
	v_add_f16_e32 v105, v107, v108
	v_add_f16_e32 v107, v23, v107
	;; [unrolled: 1-line block ×3, first 2 shown]
	v_fmamk_f16 v116, v101, 0xbaee, v9
	v_fmac_f16_e32 v9, 0x3aee, v101
	v_add_f16_e32 v101, v11, v15
	v_fmac_f16_e32 v23, -0.5, v105
	v_sub_f16_e32 v105, v189, v190
	v_add_f16_e32 v103, v103, v190
	v_add_f16_e32 v107, v107, v108
	v_fmac_f16_e32 v106, -0.5, v101
	v_sub_f16_e32 v101, v175, v13
	v_fmamk_f16 v108, v105, 0x3aee, v23
	v_fmac_f16_e32 v172, -0.5, v118
	v_sub_f16_e32 v11, v11, v15
	v_fmac_f16_e32 v23, 0xbaee, v105
	v_fmamk_f16 v105, v101, 0x3aee, v106
	v_fmac_f16_e32 v106, 0xbaee, v101
	v_add_f16_e32 v13, v154, v13
	v_fmamk_f16 v101, v11, 0xbaee, v172
	v_fmac_f16_e32 v172, 0x3aee, v11
	v_add_f16_e32 v15, v153, v15
	v_mul_f16_e32 v118, 0xbaee, v106
	v_mul_f16_e32 v106, -0.5, v106
	v_add_f16_e32 v153, v103, v13
	v_sub_f16_e32 v13, v103, v13
	v_add_f16_e32 v103, v17, v25
	v_lshrrev_b32_e32 v111, 16, v10
	v_mul_f16_e32 v11, 0xbaee, v105
	v_mul_f16_e32 v105, 0.5, v105
	v_fmac_f16_e32 v106, 0x3aee, v172
	v_add_f16_e32 v155, v107, v15
	v_sub_f16_e32 v15, v107, v15
	v_add_f16_e32 v107, v10, v17
	v_fmac_f16_e32 v10, -0.5, v103
	v_sub_f16_e32 v103, v12, v16
	v_fmac_f16_e32 v105, 0x3aee, v101
	v_add_f16_e32 v157, v23, v106
	v_sub_f16_e32 v23, v23, v106
	v_add_f16_e32 v106, v12, v16
	v_add_f16_e32 v107, v107, v25
	v_sub_f16_e32 v17, v17, v25
	v_fmamk_f16 v25, v103, 0xbaee, v10
	v_fmac_f16_e32 v10, 0x3aee, v103
	v_add_f16_e32 v103, v14, v18
	v_add_f16_e32 v156, v108, v105
	v_sub_f16_e32 v105, v108, v105
	v_add_f16_e32 v12, v111, v12
	v_fmac_f16_e32 v111, -0.5, v106
	v_add_f16_e32 v106, v110, v26
	v_add_f16_e32 v108, v24, v14
	v_fmac_f16_e32 v24, -0.5, v103
	v_sub_f16_e32 v103, v110, v26
	v_add_f16_e32 v12, v12, v16
	v_fmamk_f16 v16, v17, 0x3aee, v111
	v_add_f16_e32 v110, v109, v110
	v_fmac_f16_e32 v109, -0.5, v106
	v_sub_f16_e32 v14, v14, v18
	v_fmac_f16_e32 v111, 0xbaee, v17
	v_fmamk_f16 v17, v103, 0x3aee, v24
	v_fmac_f16_e32 v24, 0xbaee, v103
	v_add_f16_e32 v18, v108, v18
	v_fmamk_f16 v103, v14, 0xbaee, v109
	v_fmac_f16_e32 v109, 0x3aee, v14
	v_mul_f16_e32 v14, 0xbaee, v17
	v_mul_f16_e32 v17, 0.5, v17
	v_fmac_f16_e32 v11, 0.5, v101
	v_add_f16_e32 v26, v110, v26
	v_add_f16_e32 v110, v12, v18
	v_fmac_f16_e32 v14, 0.5, v103
	v_fmac_f16_e32 v17, 0x3aee, v103
	v_sub_f16_e32 v12, v12, v18
	v_add_f16_e32 v18, v112, v37
	v_lshrrev_b32_e32 v117, 16, v2
	v_add_f16_e32 v101, v116, v11
	v_sub_f16_e32 v11, v116, v11
	v_mul_f16_e32 v106, 0xbaee, v24
	v_add_f16_e32 v103, v25, v14
	v_add_f16_e32 v116, v16, v17
	v_sub_f16_e32 v14, v25, v14
	v_sub_f16_e32 v16, v16, v17
	v_add_f16_e32 v17, v2, v112
	v_add_f16_e32 v25, v21, v39
	v_fma_f16 v2, -0.5, v18, v2
	v_sub_f16_e32 v18, v21, v39
	v_mul_f16_e32 v24, -0.5, v24
	v_fmac_f16_e32 v106, -0.5, v109
	v_add_f16_e32 v17, v17, v37
	v_add_f16_e32 v21, v117, v21
	v_fmac_f16_e32 v117, -0.5, v25
	v_sub_f16_e32 v25, v112, v37
	v_fmamk_f16 v37, v18, 0xbaee, v2
	v_fmac_f16_e32 v2, 0x3aee, v18
	v_add_f16_e32 v18, v38, v83
	v_add_f16_e32 v108, v107, v26
	v_fmac_f16_e32 v24, 0x3aee, v109
	v_add_f16_e32 v109, v10, v106
	v_sub_f16_e32 v26, v107, v26
	v_sub_f16_e32 v10, v10, v106
	v_add_f16_e32 v106, v36, v79
	v_add_f16_e32 v107, v19, v38
	v_fmac_f16_e32 v19, -0.5, v18
	v_sub_f16_e32 v18, v36, v79
	v_add_f16_e32 v21, v21, v39
	v_fmamk_f16 v39, v25, 0x3aee, v117
	v_add_f16_e32 v36, v27, v36
	v_fmac_f16_e32 v27, -0.5, v106
	v_sub_f16_e32 v38, v38, v83
	v_fmac_f16_e32 v117, 0xbaee, v25
	v_fmamk_f16 v25, v18, 0x3aee, v19
	v_fmac_f16_e32 v19, 0xbaee, v18
	v_add_f16_e32 v18, v36, v79
	v_fmamk_f16 v36, v38, 0xbaee, v27
	v_fmac_f16_e32 v27, 0x3aee, v38
	v_mul_f16_e32 v38, 0xbaee, v25
	v_mul_f16_e32 v79, 0xbaee, v19
	v_mul_f16_e32 v25, 0.5, v25
	v_mul_f16_e32 v19, -0.5, v19
	v_fmac_f16_e32 v118, -0.5, v172
	v_fmac_f16_e32 v38, 0.5, v36
	v_fmac_f16_e32 v79, -0.5, v27
	v_add_f16_e32 v106, v17, v18
	v_fmac_f16_e32 v25, 0x3aee, v36
	v_fmac_f16_e32 v19, 0x3aee, v27
	v_add_f16_e32 v27, v37, v38
	v_sub_f16_e32 v17, v17, v18
	v_sub_f16_e32 v18, v37, v38
	v_add_f16_e32 v37, v113, v41
	v_lshrrev_b32_e32 v6, 16, v3
	v_add_f16_e32 v154, v9, v118
	v_sub_f16_e32 v9, v9, v118
	v_add_f16_e32 v118, v111, v24
	v_sub_f16_e32 v24, v111, v24
	;; [unrolled: 2-line block ×3, first 2 shown]
	v_add_f16_e32 v38, v3, v113
	v_add_f16_e32 v39, v22, v43
	v_fmac_f16_e32 v3, -0.5, v37
	v_sub_f16_e32 v37, v22, v43
	v_add_f16_e32 v83, v107, v83
	v_add_f16_e32 v38, v38, v41
	;; [unrolled: 1-line block ×3, first 2 shown]
	v_fmac_f16_e32 v6, -0.5, v39
	v_sub_f16_e32 v39, v113, v41
	v_fmamk_f16 v41, v37, 0xbaee, v3
	v_fmac_f16_e32 v3, 0x3aee, v37
	v_add_f16_e32 v37, v42, v84
	v_add_f16_e32 v36, v2, v79
	;; [unrolled: 1-line block ×3, first 2 shown]
	v_sub_f16_e32 v2, v2, v79
	v_sub_f16_e32 v21, v21, v83
	v_add_f16_e32 v79, v40, v80
	v_add_f16_e32 v83, v20, v42
	v_fmac_f16_e32 v20, -0.5, v37
	v_sub_f16_e32 v37, v40, v80
	v_add_f16_e32 v22, v22, v43
	v_fmamk_f16 v43, v39, 0x3aee, v6
	v_add_f16_e32 v40, v81, v40
	v_fmac_f16_e32 v81, -0.5, v79
	v_sub_f16_e32 v42, v42, v84
	v_fmac_f16_e32 v6, 0xbaee, v39
	v_fmamk_f16 v39, v37, 0x3aee, v20
	v_fmac_f16_e32 v20, 0xbaee, v37
	v_add_f16_e32 v37, v40, v80
	v_fmamk_f16 v40, v42, 0xbaee, v81
	v_fmac_f16_e32 v81, 0x3aee, v42
	v_mul_f16_e32 v42, 0xbaee, v39
	v_mul_f16_e32 v39, 0.5, v39
	v_mul_f16_e32 v79, 0xbaee, v20
	v_add_f16_e32 v80, v83, v84
	v_mul_f16_e32 v20, -0.5, v20
	v_fmac_f16_e32 v42, 0.5, v40
	v_add_f16_e32 v83, v38, v37
	v_fmac_f16_e32 v39, 0x3aee, v40
	v_sub_f16_e32 v37, v38, v37
	v_lshrrev_b32_e32 v5, 16, v0
	v_add_f16_e32 v40, v41, v42
	v_sub_f16_e32 v38, v41, v42
	v_add_f16_e32 v41, v114, v98
	v_fmac_f16_e32 v20, 0x3aee, v81
	v_add_f16_e32 v42, v0, v114
	v_add_f16_e32 v112, v117, v19
	v_sub_f16_e32 v19, v117, v19
	v_fma_f16 v0, -0.5, v41, v0
	v_sub_f16_e32 v41, v33, v35
	v_fmac_f16_e32 v79, -0.5, v81
	v_add_f16_e32 v113, v43, v39
	v_add_f16_e32 v117, v6, v20
	v_sub_f16_e32 v39, v43, v39
	v_sub_f16_e32 v6, v6, v20
	v_add_f16_e32 v20, v33, v35
	v_fmamk_f16 v43, v41, 0xbaee, v0
	v_fmac_f16_e32 v0, 0x3aee, v41
	v_add_f16_e32 v41, v34, v104
	v_add_f16_e32 v81, v3, v79
	;; [unrolled: 1-line block ×3, first 2 shown]
	v_sub_f16_e32 v3, v3, v79
	v_sub_f16_e32 v22, v22, v80
	v_add_f16_e32 v33, v5, v33
	v_fmac_f16_e32 v5, -0.5, v20
	v_sub_f16_e32 v20, v114, v98
	v_add_f16_e32 v79, v96, v100
	v_add_f16_e32 v80, v32, v34
	v_fmac_f16_e32 v32, -0.5, v41
	v_sub_f16_e32 v41, v96, v100
	v_add_f16_e32 v33, v33, v35
	v_fmamk_f16 v35, v20, 0x3aee, v5
	v_add_f16_e32 v96, v82, v96
	v_fmac_f16_e32 v82, -0.5, v79
	v_sub_f16_e32 v34, v34, v104
	v_fmac_f16_e32 v5, 0xbaee, v20
	v_fmamk_f16 v20, v41, 0x3aee, v32
	v_add_f16_e32 v42, v42, v98
	v_fmac_f16_e32 v32, 0xbaee, v41
	v_add_f16_e32 v41, v96, v100
	v_fmamk_f16 v79, v34, 0xbaee, v82
	v_fmac_f16_e32 v82, 0x3aee, v34
	v_mul_f16_e32 v34, 0xbaee, v20
	v_mul_f16_e32 v20, 0.5, v20
	v_mul_f16_e32 v96, 0xbaee, v32
	v_mul_f16_e32 v32, -0.5, v32
	v_add_f16_e32 v98, v42, v41
	v_sub_f16_e32 v41, v42, v41
	v_fmac_f16_e32 v20, 0x3aee, v79
	v_add_f16_e32 v42, v115, v97
	v_lshrrev_b32_e32 v4, 16, v1
	v_fma_f16 v102, v171, v188, -v102
	v_add_f16_e32 v80, v80, v104
	v_fmac_f16_e32 v34, 0.5, v79
	v_fmac_f16_e32 v32, 0x3aee, v82
	v_add_f16_e32 v104, v35, v20
	v_sub_f16_e32 v20, v35, v20
	v_add_f16_e32 v35, v1, v115
	v_fmac_f16_e32 v1, -0.5, v42
	v_sub_f16_e32 v42, v29, v31
	v_fmac_f16_e32 v96, -0.5, v82
	v_add_f16_e32 v79, v43, v34
	v_add_f16_e32 v114, v5, v32
	v_sub_f16_e32 v34, v43, v34
	v_sub_f16_e32 v5, v5, v32
	v_add_f16_e32 v32, v29, v31
	v_fmamk_f16 v43, v42, 0xbaee, v1
	v_fmac_f16_e32 v1, 0x3aee, v42
	v_add_f16_e32 v42, v30, v102
	v_add_f16_e32 v82, v0, v96
	;; [unrolled: 1-line block ×3, first 2 shown]
	v_sub_f16_e32 v0, v0, v96
	v_sub_f16_e32 v33, v33, v80
	v_add_f16_e32 v29, v4, v29
	v_fmac_f16_e32 v4, -0.5, v32
	v_sub_f16_e32 v32, v115, v97
	v_add_f16_e32 v80, v28, v99
	v_add_f16_e32 v96, v8, v30
	v_fmac_f16_e32 v8, -0.5, v42
	v_sub_f16_e32 v42, v28, v99
	v_add_f16_e32 v29, v29, v31
	v_fmamk_f16 v31, v32, 0x3aee, v4
	v_add_f16_e32 v28, v7, v28
	v_fmac_f16_e32 v7, -0.5, v80
	v_sub_f16_e32 v30, v30, v102
	v_fmac_f16_e32 v4, 0xbaee, v32
	v_fmamk_f16 v32, v42, 0x3aee, v8
	v_fmac_f16_e32 v8, 0xbaee, v42
	v_add_f16_e32 v35, v35, v97
	v_fmamk_f16 v42, v30, 0xbaee, v7
	v_fmac_f16_e32 v7, 0x3aee, v30
	v_mul_f16_e32 v30, 0xbaee, v32
	v_mul_f16_e32 v80, 0xbaee, v8
	v_mul_f16_e32 v32, 0.5, v32
	v_mul_f16_e32 v8, -0.5, v8
	v_add_f16_e32 v28, v28, v99
	v_add_f16_e32 v96, v96, v102
	v_pack_b32_f16 v13, v13, v15
	v_fmac_f16_e32 v32, 0x3aee, v42
	v_fmac_f16_e32 v8, 0x3aee, v7
	v_add_f16_e32 v97, v35, v28
	v_sub_f16_e32 v28, v35, v28
	v_pack_b32_f16 v35, v154, v157
	v_add_f16_e32 v102, v31, v32
	v_add_f16_e32 v115, v4, v8
	v_sub_f16_e32 v31, v31, v32
	v_sub_f16_e32 v4, v4, v8
	v_pack_b32_f16 v8, v153, v155
	v_pack_b32_f16 v32, v101, v156
	;; [unrolled: 1-line block ×4, first 2 shown]
	ds_write2_b32 v119, v8, v32 offset1:60
	ds_write2_b32 v119, v35, v13 offset0:120 offset1:180
	ds_write2_b32 v94, v11, v9 offset0:112 offset1:172
	v_pack_b32_f16 v8, v108, v110
	v_pack_b32_f16 v9, v103, v116
	;; [unrolled: 1-line block ×4, first 2 shown]
	v_fmac_f16_e32 v30, 0.5, v42
	v_pack_b32_f16 v13, v14, v16
	v_pack_b32_f16 v10, v10, v24
	v_fmac_f16_e32 v80, -0.5, v7
	v_pack_b32_f16 v14, v106, v107
	v_pack_b32_f16 v15, v27, v111
	v_add_nc_u32_e32 v16, 0xa00, v182
	v_pack_b32_f16 v23, v36, v112
	v_pack_b32_f16 v17, v17, v21
	v_add_nc_u32_e32 v21, 0xc00, v182
	ds_write2_b32 v89, v8, v9 offset0:104 offset1:164
	ds_write2_b32 v95, v11, v12 offset0:96 offset1:156
	;; [unrolled: 1-line block ×5, first 2 shown]
	v_pack_b32_f16 v8, v18, v25
	v_pack_b32_f16 v2, v2, v19
	;; [unrolled: 1-line block ×4, first 2 shown]
	v_add_nc_u32_e32 v11, 0x1000, v183
	v_add_f16_e32 v7, v43, v30
	v_add_f16_e32 v99, v29, v96
	v_pack_b32_f16 v12, v81, v117
	v_pack_b32_f16 v13, v37, v22
	v_add_f16_e32 v42, v1, v80
	v_sub_f16_e32 v29, v29, v96
	v_pack_b32_f16 v14, v38, v39
	v_pack_b32_f16 v3, v3, v6
	v_add_nc_u32_e32 v6, 0x1400, v183
	v_sub_f16_e32 v30, v43, v30
	v_sub_f16_e32 v1, v1, v80
	v_pack_b32_f16 v15, v98, v100
	v_pack_b32_f16 v16, v79, v104
	v_add_nc_u32_e32 v17, 0x1400, v184
	ds_write2_b32 v21, v8, v2 offset0:192 offset1:252
	ds_write2_b32 v11, v9, v10 offset0:56 offset1:116
	;; [unrolled: 1-line block ×5, first 2 shown]
	v_pack_b32_f16 v2, v82, v114
	v_pack_b32_f16 v3, v41, v33
	v_add_nc_u32_e32 v6, 0x1800, v184
	v_pack_b32_f16 v8, v34, v20
	v_pack_b32_f16 v0, v0, v5
	;; [unrolled: 1-line block ×4, first 2 shown]
	v_add_nc_u32_e32 v9, 0x1c00, v185
	v_pack_b32_f16 v10, v42, v115
	v_pack_b32_f16 v11, v28, v29
	;; [unrolled: 1-line block ×4, first 2 shown]
	v_add_nc_u32_e32 v4, 0x1e00, v185
	ds_write2_b32 v6, v2, v3 offset0:24 offset1:84
	ds_write2_b32 v6, v8, v0 offset0:144 offset1:204
	;; [unrolled: 1-line block ×5, first 2 shown]
	s_waitcnt lgkmcnt(0)
	s_barrier
	buffer_gl0_inv
	ds_read2_b32 v[9:10], v119 offset1:60
	ds_read2_b32 v[7:8], v89 offset0:104 offset1:164
	ds_read2_b32 v[11:12], v88 offset0:80 offset1:140
	;; [unrolled: 1-line block ×17, first 2 shown]
	s_waitcnt lgkmcnt(17)
	v_lshrrev_b32_e32 v39, 16, v9
	s_waitcnt lgkmcnt(16)
	v_lshrrev_b32_e32 v40, 16, v7
	;; [unrolled: 2-line block ×4, first 2 shown]
	v_mul_f16_sdwa v117, v56, v7 dst_sel:DWORD dst_unused:UNUSED_PAD src0_sel:WORD_1 src1_sel:DWORD
	s_waitcnt lgkmcnt(13)
	v_lshrrev_b32_e32 v43, 16, v15
	v_mul_f16_sdwa v115, v56, v40 dst_sel:DWORD dst_unused:UNUSED_PAD src0_sel:WORD_1 src1_sel:DWORD
	v_mul_f16_sdwa v153, v57, v41 dst_sel:DWORD dst_unused:UNUSED_PAD src0_sel:WORD_1 src1_sel:DWORD
	s_waitcnt lgkmcnt(12)
	v_lshrrev_b32_e32 v79, 16, v17
	v_lshrrev_b32_e32 v81, 16, v8
	v_fma_f16 v40, v56, v40, -v117
	v_fmac_f16_e32 v115, v56, v7
	v_mul_f16_sdwa v7, v57, v11 dst_sel:DWORD dst_unused:UNUSED_PAD src0_sel:WORD_1 src1_sel:DWORD
	v_mul_f16_sdwa v56, v58, v42 dst_sel:DWORD dst_unused:UNUSED_PAD src0_sel:WORD_1 src1_sel:DWORD
	v_fmac_f16_e32 v153, v57, v11
	v_mul_f16_sdwa v11, v58, v13 dst_sel:DWORD dst_unused:UNUSED_PAD src0_sel:WORD_1 src1_sel:DWORD
	v_lshrrev_b32_e32 v82, 16, v12
	v_fma_f16 v41, v57, v41, -v7
	v_mul_f16_sdwa v7, v59, v15 dst_sel:DWORD dst_unused:UNUSED_PAD src0_sel:WORD_1 src1_sel:DWORD
	v_mul_f16_sdwa v57, v59, v43 dst_sel:DWORD dst_unused:UNUSED_PAD src0_sel:WORD_1 src1_sel:DWORD
	v_fmac_f16_e32 v56, v58, v13
	v_fma_f16 v11, v58, v42, -v11
	v_mul_f16_sdwa v13, v181, v79 dst_sel:DWORD dst_unused:UNUSED_PAD src0_sel:WORD_1 src1_sel:DWORD
	v_fma_f16 v42, v59, v43, -v7
	v_mul_f16_sdwa v43, v52, v81 dst_sel:DWORD dst_unused:UNUSED_PAD src0_sel:WORD_1 src1_sel:DWORD
	v_lshrrev_b32_e32 v83, 16, v14
	v_lshrrev_b32_e32 v84, 16, v16
	v_fmac_f16_e32 v57, v59, v15
	v_mul_f16_sdwa v15, v181, v17 dst_sel:DWORD dst_unused:UNUSED_PAD src0_sel:WORD_1 src1_sel:DWORD
	v_fmac_f16_e32 v13, v181, v17
	v_mul_f16_sdwa v7, v52, v8 dst_sel:DWORD dst_unused:UNUSED_PAD src0_sel:WORD_1 src1_sel:DWORD
	v_mul_f16_sdwa v17, v53, v82 dst_sel:DWORD dst_unused:UNUSED_PAD src0_sel:WORD_1 src1_sel:DWORD
	v_fmac_f16_e32 v43, v52, v8
	v_mul_f16_sdwa v8, v53, v12 dst_sel:DWORD dst_unused:UNUSED_PAD src0_sel:WORD_1 src1_sel:DWORD
	v_lshrrev_b32_e32 v95, 16, v18
	s_waitcnt lgkmcnt(10)
	v_lshrrev_b32_e32 v97, 16, v19
	v_fma_f16 v52, v52, v81, -v7
	v_mul_f16_sdwa v58, v54, v83 dst_sel:DWORD dst_unused:UNUSED_PAD src0_sel:WORD_1 src1_sel:DWORD
	v_fmac_f16_e32 v17, v53, v12
	v_mul_f16_sdwa v7, v54, v14 dst_sel:DWORD dst_unused:UNUSED_PAD src0_sel:WORD_1 src1_sel:DWORD
	v_fma_f16 v12, v53, v82, -v8
	v_mul_f16_sdwa v53, v55, v84 dst_sel:DWORD dst_unused:UNUSED_PAD src0_sel:WORD_1 src1_sel:DWORD
	v_mul_f16_sdwa v8, v55, v16 dst_sel:DWORD dst_unused:UNUSED_PAD src0_sel:WORD_1 src1_sel:DWORD
	s_waitcnt lgkmcnt(9)
	v_lshrrev_b32_e32 v98, 16, v21
	s_waitcnt lgkmcnt(8)
	v_lshrrev_b32_e32 v99, 16, v23
	v_fmac_f16_e32 v58, v54, v14
	v_fma_f16 v14, v54, v83, -v7
	v_mul_f16_sdwa v54, v180, v95 dst_sel:DWORD dst_unused:UNUSED_PAD src0_sel:WORD_1 src1_sel:DWORD
	v_fmac_f16_e32 v53, v55, v16
	v_mul_f16_sdwa v7, v180, v18 dst_sel:DWORD dst_unused:UNUSED_PAD src0_sel:WORD_1 src1_sel:DWORD
	v_fma_f16 v16, v55, v84, -v8
	v_mul_f16_sdwa v55, v48, v97 dst_sel:DWORD dst_unused:UNUSED_PAD src0_sel:WORD_1 src1_sel:DWORD
	v_mul_f16_sdwa v8, v48, v19 dst_sel:DWORD dst_unused:UNUSED_PAD src0_sel:WORD_1 src1_sel:DWORD
	s_waitcnt lgkmcnt(7)
	v_lshrrev_b32_e32 v100, 16, v25
	s_waitcnt lgkmcnt(6)
	v_lshrrev_b32_e32 v101, 16, v27
	v_fmac_f16_e32 v54, v180, v18
	v_fma_f16 v18, v180, v95, -v7
	v_mul_f16_sdwa v59, v49, v98 dst_sel:DWORD dst_unused:UNUSED_PAD src0_sel:WORD_1 src1_sel:DWORD
	v_fmac_f16_e32 v55, v48, v19
	v_mul_f16_sdwa v7, v49, v21 dst_sel:DWORD dst_unused:UNUSED_PAD src0_sel:WORD_1 src1_sel:DWORD
	v_fma_f16 v19, v48, v97, -v8
	v_mul_f16_sdwa v48, v50, v99 dst_sel:DWORD dst_unused:UNUSED_PAD src0_sel:WORD_1 src1_sel:DWORD
	v_mul_f16_sdwa v8, v50, v23 dst_sel:DWORD dst_unused:UNUSED_PAD src0_sel:WORD_1 src1_sel:DWORD
	v_lshrrev_b32_e32 v102, 16, v20
	v_lshrrev_b32_e32 v103, 16, v22
	v_fmac_f16_e32 v59, v49, v21
	v_fma_f16 v21, v49, v98, -v7
	v_mul_f16_sdwa v49, v51, v100 dst_sel:DWORD dst_unused:UNUSED_PAD src0_sel:WORD_1 src1_sel:DWORD
	v_fmac_f16_e32 v48, v50, v23
	v_mul_f16_sdwa v7, v51, v25 dst_sel:DWORD dst_unused:UNUSED_PAD src0_sel:WORD_1 src1_sel:DWORD
	v_fma_f16 v23, v50, v99, -v8
	v_mul_f16_sdwa v50, v179, v101 dst_sel:DWORD dst_unused:UNUSED_PAD src0_sel:WORD_1 src1_sel:DWORD
	v_mul_f16_sdwa v8, v179, v27 dst_sel:DWORD dst_unused:UNUSED_PAD src0_sel:WORD_1 src1_sel:DWORD
	v_lshrrev_b32_e32 v104, 16, v24
	v_lshrrev_b32_e32 v105, 16, v26
	v_fma_f16 v15, v181, v79, -v15
	v_fmac_f16_e32 v49, v51, v25
	v_fma_f16 v25, v51, v100, -v7
	v_mul_f16_sdwa v51, v44, v102 dst_sel:DWORD dst_unused:UNUSED_PAD src0_sel:WORD_1 src1_sel:DWORD
	v_fmac_f16_e32 v50, v179, v27
	v_mul_f16_sdwa v7, v44, v20 dst_sel:DWORD dst_unused:UNUSED_PAD src0_sel:WORD_1 src1_sel:DWORD
	v_fma_f16 v27, v179, v101, -v8
	v_mul_f16_sdwa v79, v45, v103 dst_sel:DWORD dst_unused:UNUSED_PAD src0_sel:WORD_1 src1_sel:DWORD
	v_mul_f16_sdwa v8, v45, v22 dst_sel:DWORD dst_unused:UNUSED_PAD src0_sel:WORD_1 src1_sel:DWORD
	v_lshrrev_b32_e32 v106, 16, v28
	s_waitcnt lgkmcnt(4)
	v_lshrrev_b32_e32 v107, 16, v29
	v_fmac_f16_e32 v51, v44, v20
	v_fma_f16 v20, v44, v102, -v7
	v_mul_f16_sdwa v44, v46, v104 dst_sel:DWORD dst_unused:UNUSED_PAD src0_sel:WORD_1 src1_sel:DWORD
	v_fmac_f16_e32 v79, v45, v22
	v_mul_f16_sdwa v7, v46, v24 dst_sel:DWORD dst_unused:UNUSED_PAD src0_sel:WORD_1 src1_sel:DWORD
	v_fma_f16 v22, v45, v103, -v8
	v_mul_f16_sdwa v45, v47, v105 dst_sel:DWORD dst_unused:UNUSED_PAD src0_sel:WORD_1 src1_sel:DWORD
	v_mul_f16_sdwa v8, v47, v26 dst_sel:DWORD dst_unused:UNUSED_PAD src0_sel:WORD_1 src1_sel:DWORD
	s_waitcnt lgkmcnt(3)
	v_lshrrev_b32_e32 v108, 16, v31
	s_waitcnt lgkmcnt(2)
	v_lshrrev_b32_e32 v109, 16, v33
	v_fmac_f16_e32 v44, v46, v24
	v_fma_f16 v24, v46, v104, -v7
	v_mul_f16_sdwa v46, v178, v106 dst_sel:DWORD dst_unused:UNUSED_PAD src0_sel:WORD_1 src1_sel:DWORD
	v_fmac_f16_e32 v45, v47, v26
	v_mul_f16_sdwa v7, v178, v28 dst_sel:DWORD dst_unused:UNUSED_PAD src0_sel:WORD_1 src1_sel:DWORD
	v_fma_f16 v26, v47, v105, -v8
	v_mul_f16_sdwa v47, v64, v107 dst_sel:DWORD dst_unused:UNUSED_PAD src0_sel:WORD_1 src1_sel:DWORD
	v_mul_f16_sdwa v8, v64, v29 dst_sel:DWORD dst_unused:UNUSED_PAD src0_sel:WORD_1 src1_sel:DWORD
	s_waitcnt lgkmcnt(1)
	v_lshrrev_b32_e32 v110, 16, v35
	s_waitcnt lgkmcnt(0)
	v_lshrrev_b32_e32 v111, 16, v37
	v_fmac_f16_e32 v46, v178, v28
	v_fma_f16 v28, v178, v106, -v7
	v_mul_f16_sdwa v81, v65, v108 dst_sel:DWORD dst_unused:UNUSED_PAD src0_sel:WORD_1 src1_sel:DWORD
	v_fmac_f16_e32 v47, v64, v29
	v_mul_f16_sdwa v7, v65, v31 dst_sel:DWORD dst_unused:UNUSED_PAD src0_sel:WORD_1 src1_sel:DWORD
	v_fma_f16 v29, v64, v107, -v8
	v_mul_f16_sdwa v64, v66, v109 dst_sel:DWORD dst_unused:UNUSED_PAD src0_sel:WORD_1 src1_sel:DWORD
	v_mul_f16_sdwa v8, v66, v33 dst_sel:DWORD dst_unused:UNUSED_PAD src0_sel:WORD_1 src1_sel:DWORD
	v_lshrrev_b32_e32 v112, 16, v30
	v_lshrrev_b32_e32 v113, 16, v32
	v_fmac_f16_e32 v81, v65, v31
	v_fma_f16 v31, v65, v108, -v7
	v_mul_f16_sdwa v65, v67, v110 dst_sel:DWORD dst_unused:UNUSED_PAD src0_sel:WORD_1 src1_sel:DWORD
	v_fmac_f16_e32 v64, v66, v33
	v_mul_f16_sdwa v7, v67, v35 dst_sel:DWORD dst_unused:UNUSED_PAD src0_sel:WORD_1 src1_sel:DWORD
	v_fma_f16 v33, v66, v109, -v8
	v_mul_f16_sdwa v66, v187, v111 dst_sel:DWORD dst_unused:UNUSED_PAD src0_sel:WORD_1 src1_sel:DWORD
	v_lshrrev_b32_e32 v114, 16, v34
	v_fmac_f16_e32 v65, v67, v35
	v_mul_f16_sdwa v8, v187, v37 dst_sel:DWORD dst_unused:UNUSED_PAD src0_sel:WORD_1 src1_sel:DWORD
	v_fma_f16 v35, v67, v110, -v7
	v_mul_f16_sdwa v7, v60, v112 dst_sel:DWORD dst_unused:UNUSED_PAD src0_sel:WORD_1 src1_sel:DWORD
	v_fmac_f16_e32 v66, v187, v37
	v_mul_f16_sdwa v37, v60, v30 dst_sel:DWORD dst_unused:UNUSED_PAD src0_sel:WORD_1 src1_sel:DWORD
	v_mul_f16_sdwa v82, v61, v113 dst_sel:DWORD dst_unused:UNUSED_PAD src0_sel:WORD_1 src1_sel:DWORD
	v_lshrrev_b32_e32 v116, 16, v36
	v_lshrrev_b32_e32 v118, 16, v38
	v_fma_f16 v67, v187, v111, -v8
	v_fmac_f16_e32 v7, v60, v30
	v_mul_f16_sdwa v30, v61, v32 dst_sel:DWORD dst_unused:UNUSED_PAD src0_sel:WORD_1 src1_sel:DWORD
	v_fma_f16 v8, v60, v112, -v37
	v_mul_f16_sdwa v37, v62, v114 dst_sel:DWORD dst_unused:UNUSED_PAD src0_sel:WORD_1 src1_sel:DWORD
	v_fmac_f16_e32 v82, v61, v32
	v_mul_f16_sdwa v32, v62, v34 dst_sel:DWORD dst_unused:UNUSED_PAD src0_sel:WORD_1 src1_sel:DWORD
	v_fma_f16 v30, v61, v113, -v30
	v_mul_f16_sdwa v60, v63, v116 dst_sel:DWORD dst_unused:UNUSED_PAD src0_sel:WORD_1 src1_sel:DWORD
	;; [unrolled: 4-line block ×3, first 2 shown]
	v_add_f16_e32 v62, v153, v57
	v_fmac_f16_e32 v60, v63, v36
	v_mul_f16_sdwa v36, v186, v38 dst_sel:DWORD dst_unused:UNUSED_PAD src0_sel:WORD_1 src1_sel:DWORD
	v_fma_f16 v34, v63, v116, -v34
	v_fmac_f16_e32 v61, v186, v38
	v_add_f16_e32 v38, v9, v153
	v_add_f16_e32 v63, v41, v42
	v_fma_f16 v9, -0.5, v62, v9
	v_sub_f16_e32 v62, v41, v42
	v_add_f16_e32 v41, v39, v41
	v_add_f16_e32 v38, v38, v57
	v_fmac_f16_e32 v39, -0.5, v63
	v_sub_f16_e32 v57, v153, v57
	v_fmamk_f16 v63, v62, 0xbaee, v9
	v_fmac_f16_e32 v9, 0x3aee, v62
	v_add_f16_e32 v62, v11, v15
	v_add_f16_e32 v83, v56, v13
	;; [unrolled: 1-line block ×4, first 2 shown]
	v_fmamk_f16 v42, v57, 0x3aee, v39
	v_fmac_f16_e32 v40, -0.5, v62
	v_sub_f16_e32 v62, v56, v13
	v_add_f16_e32 v56, v115, v56
	v_fmac_f16_e32 v115, -0.5, v83
	v_sub_f16_e32 v11, v11, v15
	v_fmac_f16_e32 v39, 0xbaee, v57
	v_fmamk_f16 v57, v62, 0x3aee, v40
	v_fmac_f16_e32 v40, 0xbaee, v62
	v_add_f16_e32 v13, v56, v13
	v_fmamk_f16 v56, v11, 0xbaee, v115
	v_fmac_f16_e32 v115, 0x3aee, v11
	v_mul_f16_e32 v11, 0xbaee, v57
	v_mul_f16_e32 v62, 0xbaee, v40
	v_mul_f16_e32 v57, 0.5, v57
	v_mul_f16_e32 v40, -0.5, v40
	v_add_f16_e32 v15, v84, v15
	v_add_f16_e32 v83, v38, v13
	v_sub_f16_e32 v13, v38, v13
	v_fmac_f16_e32 v57, 0x3aee, v56
	v_fmac_f16_e32 v40, 0x3aee, v115
	v_add_f16_e32 v38, v17, v53
	v_lshrrev_b32_e32 v80, 16, v10
	v_add_f16_e32 v95, v41, v15
	v_add_f16_e32 v97, v42, v57
	v_add_f16_e32 v98, v39, v40
	v_sub_f16_e32 v15, v41, v15
	v_sub_f16_e32 v41, v42, v57
	v_add_f16_e32 v42, v10, v17
	v_sub_f16_e32 v39, v39, v40
	v_add_f16_e32 v40, v12, v16
	v_fmac_f16_e32 v10, -0.5, v38
	v_sub_f16_e32 v38, v12, v16
	v_add_f16_e32 v12, v80, v12
	v_add_f16_e32 v42, v42, v53
	v_fmac_f16_e32 v80, -0.5, v40
	v_sub_f16_e32 v17, v17, v53
	v_fmamk_f16 v40, v38, 0xbaee, v10
	v_fmac_f16_e32 v10, 0x3aee, v38
	v_add_f16_e32 v38, v14, v18
	v_add_f16_e32 v53, v58, v54
	;; [unrolled: 1-line block ×4, first 2 shown]
	v_fmamk_f16 v16, v17, 0x3aee, v80
	v_fmac_f16_e32 v52, -0.5, v38
	v_sub_f16_e32 v38, v58, v54
	v_add_f16_e32 v58, v43, v58
	v_fmac_f16_e32 v43, -0.5, v53
	v_sub_f16_e32 v14, v14, v18
	v_fmac_f16_e32 v80, 0xbaee, v17
	v_fmamk_f16 v17, v38, 0x3aee, v52
	v_add_f16_e32 v18, v57, v18
	v_fmac_f16_e32 v62, -0.5, v115
	v_fmamk_f16 v53, v14, 0xbaee, v43
	v_fmac_f16_e32 v43, 0x3aee, v14
	v_mul_f16_e32 v14, 0xbaee, v17
	v_mul_f16_e32 v17, 0.5, v17
	v_fmac_f16_e32 v52, 0xbaee, v38
	v_add_f16_e32 v38, v58, v54
	v_add_f16_e32 v58, v12, v18
	v_sub_f16_e32 v12, v12, v18
	v_fmac_f16_e32 v17, 0x3aee, v53
	v_add_f16_e32 v18, v59, v49
	v_lshrrev_b32_e32 v96, 16, v2
	v_add_f16_e32 v84, v9, v62
	v_sub_f16_e32 v9, v9, v62
	v_mul_f16_e32 v54, 0xbaee, v52
	v_mul_f16_e32 v52, -0.5, v52
	v_add_f16_e32 v57, v42, v38
	v_add_f16_e32 v62, v16, v17
	v_sub_f16_e32 v38, v42, v38
	v_sub_f16_e32 v16, v16, v17
	v_add_f16_e32 v17, v2, v59
	v_add_f16_e32 v42, v21, v25
	v_fma_f16 v2, -0.5, v18, v2
	v_sub_f16_e32 v18, v21, v25
	v_fmac_f16_e32 v11, 0.5, v56
	v_fmac_f16_e32 v14, 0.5, v53
	v_fmac_f16_e32 v54, -0.5, v43
	v_fmac_f16_e32 v52, 0x3aee, v43
	v_add_f16_e32 v17, v17, v49
	v_add_f16_e32 v21, v96, v21
	v_fmac_f16_e32 v96, -0.5, v42
	v_sub_f16_e32 v42, v59, v49
	v_fmamk_f16 v49, v18, 0xbaee, v2
	v_fmac_f16_e32 v2, 0x3aee, v18
	v_add_f16_e32 v18, v23, v27
	v_add_f16_e32 v56, v63, v11
	v_sub_f16_e32 v11, v63, v11
	v_add_f16_e32 v43, v40, v14
	v_add_f16_e32 v53, v10, v54
	;; [unrolled: 1-line block ×3, first 2 shown]
	v_sub_f16_e32 v14, v40, v14
	v_sub_f16_e32 v10, v10, v54
	;; [unrolled: 1-line block ×3, first 2 shown]
	v_add_f16_e32 v52, v48, v50
	v_add_f16_e32 v54, v19, v23
	v_fmac_f16_e32 v19, -0.5, v18
	v_sub_f16_e32 v18, v48, v50
	v_add_f16_e32 v21, v21, v25
	v_fmamk_f16 v25, v42, 0x3aee, v96
	v_add_f16_e32 v48, v55, v48
	v_fmac_f16_e32 v55, -0.5, v52
	v_sub_f16_e32 v23, v23, v27
	v_fmac_f16_e32 v96, 0xbaee, v42
	v_fmamk_f16 v42, v18, 0x3aee, v19
	v_fmac_f16_e32 v19, 0xbaee, v18
	v_add_f16_e32 v18, v48, v50
	v_fmamk_f16 v48, v23, 0xbaee, v55
	v_fmac_f16_e32 v55, 0x3aee, v23
	v_mul_f16_e32 v23, 0xbaee, v42
	v_mul_f16_e32 v42, 0.5, v42
	v_mul_f16_e32 v50, 0xbaee, v19
	v_add_f16_e32 v27, v54, v27
	v_mul_f16_e32 v19, -0.5, v19
	v_fmac_f16_e32 v23, 0.5, v48
	v_add_f16_e32 v52, v17, v18
	v_fmac_f16_e32 v42, 0x3aee, v48
	v_sub_f16_e32 v17, v17, v18
	v_lshrrev_b32_e32 v6, 16, v3
	v_add_f16_e32 v48, v49, v23
	v_sub_f16_e32 v18, v49, v23
	v_add_f16_e32 v23, v79, v45
	v_fmac_f16_e32 v50, -0.5, v55
	v_fmac_f16_e32 v19, 0x3aee, v55
	v_add_f16_e32 v55, v21, v27
	v_add_f16_e32 v59, v25, v42
	v_sub_f16_e32 v21, v21, v27
	v_sub_f16_e32 v25, v25, v42
	v_add_f16_e32 v27, v3, v79
	v_add_f16_e32 v42, v22, v26
	v_fmac_f16_e32 v3, -0.5, v23
	v_sub_f16_e32 v23, v22, v26
	v_add_f16_e32 v22, v6, v22
	v_add_f16_e32 v27, v27, v45
	v_fmac_f16_e32 v6, -0.5, v42
	v_sub_f16_e32 v42, v79, v45
	v_fmamk_f16 v45, v23, 0xbaee, v3
	v_fmac_f16_e32 v3, 0x3aee, v23
	v_add_f16_e32 v23, v24, v28
	v_add_f16_e32 v54, v2, v50
	v_sub_f16_e32 v2, v2, v50
	v_add_f16_e32 v49, v44, v46
	v_add_f16_e32 v50, v20, v24
	v_fmac_f16_e32 v20, -0.5, v23
	v_sub_f16_e32 v23, v44, v46
	v_add_f16_e32 v44, v51, v44
	v_add_f16_e32 v22, v22, v26
	v_fmamk_f16 v26, v42, 0x3aee, v6
	v_fmac_f16_e32 v51, -0.5, v49
	v_sub_f16_e32 v24, v24, v28
	v_fmac_f16_e32 v6, 0xbaee, v42
	v_fmamk_f16 v42, v23, 0x3aee, v20
	v_fmac_f16_e32 v20, 0xbaee, v23
	v_add_f16_e32 v23, v44, v46
	v_fmamk_f16 v44, v24, 0xbaee, v51
	v_fmac_f16_e32 v51, 0x3aee, v24
	v_mul_f16_e32 v24, 0xbaee, v42
	v_mul_f16_e32 v46, 0xbaee, v20
	v_add_f16_e32 v28, v50, v28
	v_mul_f16_e32 v42, 0.5, v42
	v_mul_f16_e32 v20, -0.5, v20
	v_add_f16_e32 v49, v27, v23
	v_sub_f16_e32 v23, v27, v23
	v_add_f16_e32 v27, v81, v65
	v_lshrrev_b32_e32 v5, 16, v0
	v_fmac_f16_e32 v46, -0.5, v51
	v_fmac_f16_e32 v42, 0x3aee, v44
	v_fmac_f16_e32 v20, 0x3aee, v51
	v_add_f16_e32 v51, v22, v28
	v_sub_f16_e32 v22, v22, v28
	v_add_f16_e32 v28, v0, v81
	v_fma_f16 v0, -0.5, v27, v0
	v_sub_f16_e32 v27, v31, v35
	v_add_f16_e32 v80, v96, v19
	v_sub_f16_e32 v19, v96, v19
	v_fmac_f16_e32 v24, 0.5, v44
	v_add_f16_e32 v79, v26, v42
	v_add_f16_e32 v96, v6, v20
	v_sub_f16_e32 v26, v26, v42
	v_sub_f16_e32 v6, v6, v20
	v_add_f16_e32 v20, v31, v35
	v_fmamk_f16 v42, v27, 0xbaee, v0
	v_fmac_f16_e32 v0, 0x3aee, v27
	v_add_f16_e32 v27, v33, v67
	v_add_f16_e32 v44, v45, v24
	;; [unrolled: 1-line block ×3, first 2 shown]
	v_sub_f16_e32 v24, v45, v24
	v_sub_f16_e32 v3, v3, v46
	v_add_f16_e32 v31, v5, v31
	v_fmac_f16_e32 v5, -0.5, v20
	v_sub_f16_e32 v20, v81, v65
	v_add_f16_e32 v45, v64, v66
	v_add_f16_e32 v46, v29, v33
	v_fmac_f16_e32 v29, -0.5, v27
	v_sub_f16_e32 v27, v64, v66
	v_add_f16_e32 v31, v31, v35
	v_fmamk_f16 v35, v20, 0x3aee, v5
	v_add_f16_e32 v64, v47, v64
	v_fmac_f16_e32 v47, -0.5, v45
	v_sub_f16_e32 v33, v33, v67
	v_fmac_f16_e32 v5, 0xbaee, v20
	v_fmamk_f16 v20, v27, 0x3aee, v29
	v_add_f16_e32 v28, v28, v65
	v_fmac_f16_e32 v29, 0xbaee, v27
	v_fmamk_f16 v45, v33, 0xbaee, v47
	v_fmac_f16_e32 v47, 0x3aee, v33
	v_mul_f16_e32 v33, 0xbaee, v20
	v_add_f16_e32 v27, v64, v66
	v_mul_f16_e32 v20, 0.5, v20
	v_mul_f16_e32 v64, 0xbaee, v29
	v_mul_f16_e32 v29, -0.5, v29
	v_fmac_f16_e32 v33, 0.5, v45
	v_add_f16_e32 v65, v28, v27
	v_fmac_f16_e32 v20, 0x3aee, v45
	v_sub_f16_e32 v27, v28, v27
	v_lshrrev_b32_e32 v4, 16, v1
	v_add_f16_e32 v45, v42, v33
	v_sub_f16_e32 v28, v42, v33
	v_add_f16_e32 v33, v82, v60
	v_fma_f16 v36, v186, v118, -v36
	v_add_f16_e32 v46, v46, v67
	v_fmac_f16_e32 v29, 0x3aee, v47
	v_add_f16_e32 v67, v35, v20
	v_sub_f16_e32 v20, v35, v20
	v_add_f16_e32 v35, v1, v82
	v_fmac_f16_e32 v1, -0.5, v33
	v_sub_f16_e32 v33, v30, v34
	v_add_f16_e32 v81, v5, v29
	v_sub_f16_e32 v5, v5, v29
	v_add_f16_e32 v29, v30, v34
	v_add_f16_e32 v66, v31, v46
	v_fmamk_f16 v42, v33, 0xbaee, v1
	v_fmac_f16_e32 v1, 0x3aee, v33
	v_add_f16_e32 v33, v32, v36
	v_sub_f16_e32 v31, v31, v46
	v_add_f16_e32 v35, v35, v60
	v_add_f16_e32 v30, v4, v30
	v_fmac_f16_e32 v4, -0.5, v29
	v_sub_f16_e32 v29, v82, v60
	v_add_f16_e32 v46, v37, v61
	v_add_f16_e32 v60, v8, v32
	v_fmac_f16_e32 v8, -0.5, v33
	v_sub_f16_e32 v33, v37, v61
	v_add_f16_e32 v30, v30, v34
	v_fmamk_f16 v34, v29, 0x3aee, v4
	v_add_f16_e32 v37, v7, v37
	v_fmac_f16_e32 v7, -0.5, v46
	v_sub_f16_e32 v32, v32, v36
	v_fmac_f16_e32 v4, 0xbaee, v29
	v_fmamk_f16 v29, v33, 0x3aee, v8
	v_fmac_f16_e32 v8, 0xbaee, v33
	v_add_f16_e32 v33, v37, v61
	v_fmamk_f16 v37, v32, 0xbaee, v7
	v_fmac_f16_e32 v7, 0x3aee, v32
	v_mul_f16_e32 v32, 0xbaee, v29
	v_mul_f16_e32 v46, 0xbaee, v8
	v_mul_f16_e32 v29, 0.5, v29
	v_mul_f16_e32 v8, -0.5, v8
	v_fmac_f16_e32 v64, -0.5, v47
	v_add_f16_e32 v36, v60, v36
	v_add_f16_e32 v60, v35, v33
	v_fmac_f16_e32 v29, 0x3aee, v37
	v_fmac_f16_e32 v8, 0x3aee, v7
	v_add_f16_e32 v47, v0, v64
	v_sub_f16_e32 v0, v0, v64
	v_sub_f16_e32 v33, v35, v33
	v_add_f16_e32 v64, v34, v29
	v_add_f16_e32 v82, v4, v8
	v_pack_b32_f16 v35, v56, v97
	v_sub_f16_e32 v29, v34, v29
	v_sub_f16_e32 v4, v4, v8
	v_pack_b32_f16 v8, v83, v95
	v_pack_b32_f16 v34, v84, v98
	;; [unrolled: 1-line block ×6, first 2 shown]
	ds_write_b32 v119, v35 offset:1440
	ds_write_b32 v119, v34 offset:2880
	ds_write_b32 v119, v13 offset:4320
	ds_write_b32 v119, v11 offset:5760
	ds_write_b32 v119, v9 offset:7200
	v_pack_b32_f16 v9, v38, v12
	ds_write2_b32 v119, v8, v15 offset1:60
	v_pack_b32_f16 v8, v43, v62
	v_pack_b32_f16 v12, v48, v59
	;; [unrolled: 1-line block ×3, first 2 shown]
	ds_write_b32 v119, v9 offset:4560
	v_pack_b32_f16 v9, v14, v16
	v_pack_b32_f16 v14, v18, v25
	ds_write2_b32 v89, v8, v12 offset0:164 offset1:224
	v_pack_b32_f16 v8, v54, v80
	v_pack_b32_f16 v12, v17, v21
	v_add_nc_u32_e32 v15, 0x1600, v119
	v_pack_b32_f16 v10, v10, v40
	v_pack_b32_f16 v2, v2, v19
	;; [unrolled: 1-line block ×4, first 2 shown]
	v_fmac_f16_e32 v32, 0.5, v37
	ds_write2_b32 v92, v11, v8 offset0:12 offset1:72
	ds_write_b32 v119, v12 offset:4800
	ds_write2_b32 v15, v9, v14 offset0:92 offset1:152
	ds_write2_b32 v90, v10, v2 offset0:68 offset1:128
	;; [unrolled: 1-line block ×3, first 2 shown]
	v_pack_b32_f16 v2, v44, v79
	v_pack_b32_f16 v9, v45, v67
	v_fmac_f16_e32 v46, -0.5, v7
	v_add_f16_e32 v61, v30, v36
	v_add_f16_e32 v7, v42, v32
	v_pack_b32_f16 v8, v50, v96
	ds_write2_b32 v93, v2, v9 offset0:28 offset1:88
	v_pack_b32_f16 v2, v47, v81
	v_add_f16_e32 v37, v1, v46
	v_pack_b32_f16 v10, v23, v22
	v_pack_b32_f16 v9, v27, v31
	v_add_nc_u32_e32 v12, 0x1200, v119
	v_sub_f16_e32 v30, v30, v36
	v_pack_b32_f16 v11, v24, v26
	v_pack_b32_f16 v13, v28, v20
	v_sub_f16_e32 v32, v42, v32
	v_pack_b32_f16 v3, v3, v6
	v_pack_b32_f16 v0, v0, v5
	;; [unrolled: 3-line block ×3, first 2 shown]
	ds_write2_b32 v92, v8, v2 offset0:132 offset1:192
	ds_write2_b32 v12, v10, v9 offset0:108 offset1:168
	;; [unrolled: 1-line block ×5, first 2 shown]
	v_pack_b32_f16 v0, v7, v64
	v_pack_b32_f16 v2, v37, v82
	;; [unrolled: 1-line block ×5, first 2 shown]
	ds_write_b32 v119, v0 offset:2640
	ds_write_b32 v119, v2 offset:4080
	;; [unrolled: 1-line block ×5, first 2 shown]
	s_waitcnt lgkmcnt(0)
	s_barrier
	buffer_gl0_inv
	ds_read2_b32 v[13:14], v119 offset1:60
	ds_read2_b32 v[6:7], v119 offset0:120 offset1:216
	s_waitcnt lgkmcnt(1)
	v_lshrrev_b32_e32 v2, 16, v13
	v_mul_f16_sdwa v3, v152, v13 dst_sel:DWORD dst_unused:UNUSED_PAD src0_sel:WORD_1 src1_sel:DWORD
	s_waitcnt lgkmcnt(0)
	v_lshrrev_b32_e32 v12, 16, v7
	v_mul_f16_sdwa v0, v152, v2 dst_sel:DWORD dst_unused:UNUSED_PAD src0_sel:WORD_1 src1_sel:DWORD
	v_fma_f16 v2, v152, v2, -v3
	v_fmac_f16_e32 v0, v152, v13
	v_cvt_f32_f16_e32 v2, v2
	v_cvt_f32_f16_e32 v0, v0
	v_cvt_f64_f32_e32 v[2:3], v2
	v_cvt_f64_f32_e32 v[0:1], v0
	v_mul_f64 v[2:3], v[2:3], s[4:5]
	v_mul_f64 v[0:1], v[0:1], s[4:5]
	v_and_or_b32 v2, 0x1ff, v3, v2
	v_lshrrev_b32_e32 v10, 8, v3
	v_bfe_u32 v11, v3, 20, 11
	v_and_or_b32 v0, 0x1ff, v1, v0
	v_lshrrev_b32_e32 v4, 8, v1
	v_bfe_u32 v5, v1, 20, 11
	v_cmp_ne_u32_e64 s0, 0, v0
	v_add_nc_u32_e32 v15, 0xfffffc10, v5
	v_cndmask_b32_e64 v0, 0, 1, s0
	v_cmp_ne_u32_e64 s0, 0, v2
	v_cmp_eq_u32_e64 s2, 0x40f, v15
	v_and_or_b32 v0, 0xffe, v4, v0
	v_sub_nc_u32_e32 v4, 0x3f1, v5
	v_cndmask_b32_e64 v2, 0, 1, s0
	v_sub_nc_u32_e32 v5, 0x3f1, v11
	v_or_b32_e32 v8, 0x1000, v0
	v_med3_i32 v4, v4, 0, 13
	v_and_or_b32 v2, 0xffe, v10, v2
	v_med3_i32 v5, v5, 0, 13
	v_lshrrev_b32_e32 v9, v4, v8
	v_or_b32_e32 v10, 0x1000, v2
	v_lshlrev_b32_e32 v4, v4, v9
	v_lshrrev_b32_e32 v16, v5, v10
	v_cmp_ne_u32_e64 s0, v4, v8
	v_mul_f16_sdwa v8, v151, v12 dst_sel:DWORD dst_unused:UNUSED_PAD src0_sel:WORD_1 src1_sel:DWORD
	v_lshlrev_b32_e32 v18, v5, v16
	v_cndmask_b32_e64 v4, 0, 1, s0
	v_cmp_gt_i32_e64 s0, 1, v15
	v_fmac_f16_e32 v8, v151, v7
	v_cmp_ne_u32_e64 s1, v18, v10
	v_add_nc_u32_e32 v18, 0xfffffc10, v11
	v_or_b32_e32 v4, v9, v4
	v_lshl_or_b32 v9, v15, 12, v0
	v_mul_f16_sdwa v7, v151, v7 dst_sel:DWORD dst_unused:UNUSED_PAD src0_sel:WORD_1 src1_sel:DWORD
	v_cndmask_b32_e64 v10, 0, 1, s1
	v_cndmask_b32_e64 v13, v9, v4, s0
	v_cvt_f32_f16_e32 v4, v8
	v_or_b32_e32 v10, v16, v10
	v_fma_f16 v7, v151, v12, -v7
	v_lshl_or_b32 v12, v18, 12, v2
	v_and_b32_e32 v17, 7, v13
	v_cvt_f64_f32_e32 v[4:5], v4
	v_lshrrev_b32_e32 v11, 2, v13
	v_mad_u64_u32 v[8:9], null, s10, v78, 0
	v_cmp_lt_i32_e64 s0, 5, v17
	v_cmp_eq_u32_e64 s1, 3, v17
	v_cvt_f32_f16_e32 v7, v7
	s_mul_i32 s10, s8, 0xfffff8a4
	s_or_b32 s0, s1, s0
	v_add_co_ci_u32_e64 v13, s0, 0, v11, s0
	v_cmp_gt_i32_e64 s0, 1, v18
	v_cndmask_b32_e64 v16, v12, v10, s0
	v_cmp_ne_u32_e64 s0, 0, v0
	v_cvt_f64_f32_e32 v[10:11], v7
	v_mul_f64 v[4:5], v[4:5], s[4:5]
	v_mov_b32_e32 v0, v9
	v_and_b32_e32 v7, 7, v16
	v_cndmask_b32_e64 v12, 0, 1, s0
	v_cmp_gt_i32_e64 s0, 31, v15
	v_cmp_eq_u32_e64 s1, 3, v7
	v_lshl_or_b32 v17, v12, 9, 0x7c00
	v_cndmask_b32_e64 v9, 0x7c00, v13, s0
	v_cmp_lt_i32_e64 s0, 5, v7
	v_mad_u64_u32 v[12:13], null, s11, v78, v[0:1]
	v_lshrrev_b32_e32 v0, 2, v16
	v_cndmask_b32_e64 v7, v9, v17, s2
	s_or_b32 s0, s1, s0
	v_lshrrev_b32_e32 v13, 16, v1
	v_mad_u64_u32 v[15:16], null, s8, v147, 0
	v_add_co_ci_u32_e64 v0, s0, 0, v0, s0
	v_cmp_ne_u32_e64 s0, 0, v2
	v_and_or_b32 v4, 0x1ff, v5, v4
	v_lshrrev_b32_e32 v17, 8, v5
	v_bfe_u32 v19, v5, 20, 11
	v_lshrrev_b32_e32 v5, 16, v5
	v_cndmask_b32_e64 v2, 0, 1, s0
	v_cmp_gt_i32_e64 s0, 31, v18
	v_add_nc_u32_e32 v23, 0xfffffc10, v19
	v_lshl_or_b32 v2, v2, 9, 0x7c00
	v_cndmask_b32_e64 v9, 0x7c00, v0, s0
	v_mul_f64 v[0:1], v[10:11], s[4:5]
	v_cmp_ne_u32_e64 s0, 0, v4
	ds_read2_b32 v[10:11], v89 offset0:176 offset1:236
	v_cndmask_b32_e64 v4, 0, 1, s0
	v_cmp_eq_u32_e64 s0, 0x40f, v18
	v_and_or_b32 v4, 0xffe, v17, v4
	v_cndmask_b32_e64 v18, v9, v2, s0
	v_mov_b32_e32 v2, v16
	v_sub_nc_u32_e32 v17, 0x3f1, v19
	v_lshrrev_b32_e32 v16, 16, v3
	v_mov_b32_e32 v9, v12
	v_mad_u64_u32 v[2:3], null, s9, v147, v[2:3]
	v_and_or_b32 v3, 0x8000, v13, v7
	v_or_b32_e32 v7, 0x1000, v4
	v_med3_i32 v12, v17, 0, 13
	v_and_or_b32 v0, 0x1ff, v1, v0
	s_waitcnt lgkmcnt(0)
	v_lshrrev_b32_e32 v20, 16, v10
	v_and_or_b32 v13, 0x8000, v16, v18
	v_mov_b32_e32 v16, v2
	v_lshrrev_b32_e32 v17, v12, v7
	v_cmp_ne_u32_e64 s0, 0, v0
	v_mul_f16_sdwa v18, v150, v20 dst_sel:DWORD dst_unused:UNUSED_PAD src0_sel:WORD_1 src1_sel:DWORD
	v_lshrrev_b32_e32 v2, 8, v1
	v_bfe_u32 v21, v1, 20, 11
	v_lshlrev_b32_e32 v12, v12, v17
	v_cndmask_b32_e64 v0, 0, 1, s0
	v_fmac_f16_e32 v18, v150, v10
	v_and_b32_e32 v22, 0xffff, v3
	v_lshrrev_b32_e32 v1, 16, v1
	v_cmp_ne_u32_e64 s0, v12, v7
	v_and_or_b32 v0, 0xffe, v2, v0
	v_sub_nc_u32_e32 v2, 0x3f1, v21
	v_cvt_f32_f16_e32 v18, v18
	v_add_nc_u32_e32 v21, 0xfffffc10, v21
	v_cndmask_b32_e64 v7, 0, 1, s0
	v_or_b32_e32 v12, 0x1000, v0
	v_med3_i32 v19, v2, 0, 13
	v_lshlrev_b64 v[2:3], 2, v[8:9]
	v_cmp_gt_i32_e64 s0, 1, v23
	v_or_b32_e32 v9, v17, v7
	v_cvt_f64_f32_e32 v[7:8], v18
	v_lshl_or_b32 v17, v23, 12, v4
	v_lshrrev_b32_e32 v24, v19, v12
	v_lshl_or_b32 v22, v13, 16, v22
	v_cmp_gt_i32_e64 s2, 1, v21
	v_cndmask_b32_e64 v17, v17, v9, s0
	v_lshlrev_b32_e32 v9, v19, v24
	v_add_co_u32 v18, s0, s6, v2
	v_add_co_ci_u32_e64 v19, s0, s7, v3, s0
	v_lshlrev_b64 v[2:3], 2, v[15:16]
	v_cmp_ne_u32_e64 s0, v9, v12
	v_and_b32_e32 v15, 7, v17
	v_cndmask_b32_e64 v9, 0, 1, s0
	v_add_co_u32 v12, s0, v18, v2
	v_add_co_ci_u32_e64 v13, s0, v19, v3, s0
	v_mul_f16_sdwa v2, v150, v10 dst_sel:DWORD dst_unused:UNUSED_PAD src0_sel:WORD_1 src1_sel:DWORD
	v_cmp_lt_i32_e64 s0, 5, v15
	v_cmp_eq_u32_e64 s1, 3, v15
	v_or_b32_e32 v3, v24, v9
	v_lshl_or_b32 v10, v21, 12, v0
	v_mul_f64 v[8:9], v[7:8], s[4:5]
	v_lshrrev_b32_e32 v7, 2, v17
	v_fma_f16 v2, v150, v20, -v2
	s_or_b32 s0, s1, s0
	v_cndmask_b32_e64 v10, v10, v3, s2
	v_cmp_eq_u32_e64 s2, 0x40f, v23
	v_add_co_ci_u32_e64 v3, s0, 0, v7, s0
	v_cmp_ne_u32_e64 s0, 0, v4
	v_cvt_f32_f16_e32 v2, v2
	global_store_dword v[12:13], v22, off
	v_cndmask_b32_e64 v4, 0, 1, s0
	v_cmp_gt_i32_e64 s0, 31, v23
	v_cvt_f64_f32_e32 v[15:16], v2
	v_and_b32_e32 v2, 7, v10
	v_lshl_or_b32 v17, v4, 9, 0x7c00
	v_cndmask_b32_e64 v7, 0x7c00, v3, s0
	ds_read2_b32 v[3:4], v93 offset0:40 offset1:136
	v_cmp_lt_i32_e64 s0, 5, v2
	v_cmp_eq_u32_e64 s1, 3, v2
	v_and_or_b32 v8, 0x1ff, v9, v8
	v_cndmask_b32_e64 v2, v7, v17, s2
	v_lshrrev_b32_e32 v7, 2, v10
	v_lshrrev_b32_e32 v10, 8, v9
	s_or_b32 s0, s1, s0
	v_bfe_u32 v17, v9, 20, 11
	v_and_or_b32 v2, 0x8000, v5, v2
	v_add_co_ci_u32_e64 v7, s0, 0, v7, s0
	v_cmp_ne_u32_e64 s0, 0, v8
	s_mul_i32 s1, s9, 0xd8
	v_and_b32_e32 v2, 0xffff, v2
	s_mul_hi_u32 s2, s8, 0xd8
	v_lshrrev_b32_e32 v9, 16, v9
	v_cndmask_b32_e64 v8, 0, 1, s0
	v_cmp_ne_u32_e64 s0, 0, v0
	v_mul_f64 v[15:16], v[15:16], s[4:5]
	s_waitcnt lgkmcnt(0)
	v_lshrrev_b32_e32 v20, 16, v4
	s_add_i32 s1, s2, s1
	v_and_or_b32 v8, 0xffe, v10, v8
	v_cndmask_b32_e64 v0, 0, 1, s0
	v_sub_nc_u32_e32 v10, 0x3f1, v17
	v_cmp_gt_i32_e64 s0, 31, v21
	v_mul_f16_sdwa v24, v149, v20 dst_sel:DWORD dst_unused:UNUSED_PAD src0_sel:WORD_1 src1_sel:DWORD
	v_or_b32_e32 v23, 0x1000, v8
	v_lshl_or_b32 v0, v0, 9, 0x7c00
	v_med3_i32 v10, v10, 0, 13
	v_cndmask_b32_e64 v7, 0x7c00, v7, s0
	v_cmp_eq_u32_e64 s0, 0x40f, v21
	v_fmac_f16_e32 v24, v149, v4
	v_add_nc_u32_e32 v17, 0xfffffc10, v17
	v_mul_f16_sdwa v4, v149, v4 dst_sel:DWORD dst_unused:UNUSED_PAD src0_sel:WORD_1 src1_sel:DWORD
	v_cndmask_b32_e64 v0, v7, v0, s0
	v_lshrrev_b32_e32 v7, v10, v23
	v_fma_f16 v4, v149, v20, -v4
	v_and_or_b32 v15, 0x1ff, v16, v15
	v_lshlrev_b32_e32 v10, v10, v7
	v_and_or_b32 v5, 0x8000, v1, v0
	v_cvt_f32_f16_e32 v0, v24
	v_lshrrev_b32_e32 v21, 8, v16
	v_bfe_u32 v22, v16, 20, 11
	v_cmp_ne_u32_e64 s0, v10, v23
	v_lshl_or_b32 v23, v5, 16, v2
	v_cvt_f64_f32_e32 v[0:1], v0
	v_cvt_f32_f16_e32 v4, v4
	v_lshrrev_b32_e32 v16, 16, v16
	v_cndmask_b32_e64 v10, 0, 1, s0
	v_cmp_ne_u32_e64 s0, 0, v15
	v_or_b32_e32 v7, v7, v10
	v_cndmask_b32_e64 v15, 0, 1, s0
	v_lshl_or_b32 v10, v17, 12, v8
	v_cmp_gt_i32_e64 s0, 1, v17
	v_and_or_b32 v15, 0xffe, v21, v15
	v_sub_nc_u32_e32 v21, 0x3f1, v22
	v_cndmask_b32_e64 v7, v10, v7, s0
	s_mul_i32 s0, s8, 0xd8
	v_or_b32_e32 v10, 0x1000, v15
	v_med3_i32 v21, v21, 0, 13
	s_lshl_b64 s[6:7], s[0:1], 2
	v_and_b32_e32 v5, 7, v7
	v_mul_f64 v[1:2], v[0:1], s[4:5]
	v_add_co_u32 v12, s0, v12, s6
	v_lshrrev_b32_e32 v24, v21, v10
	v_add_co_ci_u32_e64 v13, s0, s7, v13, s0
	v_cmp_lt_i32_e64 s0, 5, v5
	v_cmp_eq_u32_e64 s1, 3, v5
	v_lshlrev_b32_e32 v0, v21, v24
	v_lshrrev_b32_e32 v5, 2, v7
	global_store_dword v[12:13], v23, off
	s_or_b32 s0, s1, s0
	v_cmp_ne_u32_e64 s2, v0, v10
	v_add_co_ci_u32_e64 v20, s0, 0, v5, s0
	v_add_nc_u32_e32 v10, 0xfffffc10, v22
	v_cmp_ne_u32_e64 s0, 0, v8
	v_cndmask_b32_e64 v0, 0, 1, s2
	v_cvt_f64_f32_e32 v[4:5], v4
	v_lshl_or_b32 v7, v10, 12, v15
	v_cndmask_b32_e64 v21, 0, 1, s0
	v_or_b32_e32 v0, v24, v0
	v_cmp_gt_i32_e64 s0, 1, v10
	v_and_or_b32 v1, 0x1ff, v2, v1
	v_lshrrev_b32_e32 v24, 8, v2
	v_lshl_or_b32 v21, v21, 9, 0x7c00
	v_bfe_u32 v25, v2, 20, 11
	v_cndmask_b32_e64 v0, v7, v0, s0
	v_cmp_gt_i32_e64 s0, 31, v17
	ds_read2_b32 v[7:8], v92 offset0:96 offset1:156
	v_lshrrev_b32_e32 v2, 16, v2
	v_and_b32_e32 v22, 7, v0
	v_cndmask_b32_e64 v20, 0x7c00, v20, s0
	v_cmp_ne_u32_e64 s0, 0, v1
	v_lshrrev_b32_e32 v0, 2, v0
	v_cmp_eq_u32_e64 s1, 3, v22
	v_cndmask_b32_e64 v1, 0, 1, s0
	v_cmp_eq_u32_e64 s0, 0x40f, v17
	v_mul_f64 v[4:5], v[4:5], s[4:5]
	v_cndmask_b32_e64 v17, v20, v21, s0
	v_cmp_lt_i32_e64 s0, 5, v22
	v_and_or_b32 v20, 0xffe, v24, v1
	v_sub_nc_u32_e32 v1, 0x3f1, v25
	s_waitcnt lgkmcnt(0)
	v_lshrrev_b32_e32 v22, 16, v7
	v_and_or_b32 v9, 0x8000, v9, v17
	s_or_b32 s0, s1, s0
	v_or_b32_e32 v21, 0x1000, v20
	v_add_co_ci_u32_e64 v0, s0, 0, v0, s0
	v_med3_i32 v1, v1, 0, 13
	v_cmp_ne_u32_e64 s0, 0, v15
	v_mul_f16_sdwa v24, v148, v22 dst_sel:DWORD dst_unused:UNUSED_PAD src0_sel:WORD_1 src1_sel:DWORD
	v_add_nc_u32_e32 v17, 0xfffffc10, v25
	v_and_b32_e32 v9, 0xffff, v9
	v_lshrrev_b32_e32 v26, v1, v21
	v_cndmask_b32_e64 v15, 0, 1, s0
	v_cmp_gt_i32_e64 s0, 31, v10
	v_fmac_f16_e32 v24, v148, v7
	v_and_or_b32 v4, 0x1ff, v5, v4
	v_lshlrev_b32_e32 v1, v1, v26
	v_lshl_or_b32 v15, v15, 9, 0x7c00
	v_cndmask_b32_e64 v0, 0x7c00, v0, s0
	v_cmp_eq_u32_e64 s0, 0x40f, v10
	v_bfe_u32 v25, v5, 20, 11
	v_mul_f16_sdwa v7, v148, v7 dst_sel:DWORD dst_unused:UNUSED_PAD src0_sel:WORD_1 src1_sel:DWORD
	v_cndmask_b32_e64 v10, v0, v15, s0
	v_cmp_ne_u32_e64 s0, v1, v21
	v_cvt_f32_f16_e32 v0, v24
	v_lshl_or_b32 v21, v17, 12, v20
	v_lshrrev_b32_e32 v24, 8, v5
	v_and_or_b32 v10, 0x8000, v16, v10
	v_cndmask_b32_e64 v15, 0, 1, s0
	v_cmp_ne_u32_e64 s0, 0, v4
	v_cvt_f64_f32_e32 v[0:1], v0
	v_lshrrev_b32_e32 v5, 16, v5
	v_or_b32_e32 v15, v26, v15
	v_cndmask_b32_e64 v4, 0, 1, s0
	v_cmp_gt_i32_e64 s0, 1, v17
	v_lshl_or_b32 v26, v10, 16, v9
	v_and_or_b32 v4, 0xffe, v24, v4
	v_cndmask_b32_e64 v21, v21, v15, s0
	v_sub_nc_u32_e32 v15, 0x3f1, v25
	v_or_b32_e32 v23, 0x1000, v4
	v_and_b32_e32 v16, 7, v21
	v_med3_i32 v24, v15, 0, 13
	v_add_co_u32 v15, s2, v12, s6
	v_cmp_lt_i32_e64 s0, 5, v16
	v_lshrrev_b32_e32 v27, v24, v23
	v_cmp_eq_u32_e64 s1, 3, v16
	v_mul_f64 v[9:10], v[0:1], s[4:5]
	v_lshrrev_b32_e32 v1, 2, v21
	v_fma_f16 v0, v148, v22, -v7
	v_lshlrev_b32_e32 v7, v24, v27
	s_or_b32 s0, s1, s0
	v_add_co_ci_u32_e64 v16, s2, s7, v13, s2
	v_add_co_ci_u32_e64 v21, s0, 0, v1, s0
	v_cmp_ne_u32_e64 s0, v7, v23
	v_cvt_f32_f16_e32 v0, v0
	v_add_nc_u32_e32 v7, 0xfffffc10, v25
	global_store_dword v[15:16], v26, off
	v_cndmask_b32_e64 v1, 0, 1, s0
	v_cmp_ne_u32_e64 s0, 0, v20
	v_cvt_f64_f32_e32 v[12:13], v0
	v_add_nc_u32_e32 v0, 0xe00, v119
	v_lshl_or_b32 v23, v7, 12, v4
	v_or_b32_e32 v22, v27, v1
	v_cndmask_b32_e64 v20, 0, 1, s0
	v_cmp_gt_i32_e64 s0, 31, v17
	v_and_or_b32 v9, 0x1ff, v10, v9
	ds_read2_b32 v[0:1], v0 offset0:88 offset1:184
	v_bfe_u32 v24, v10, 20, 11
	v_lshl_or_b32 v20, v20, 9, 0x7c00
	v_cndmask_b32_e64 v21, 0x7c00, v21, s0
	v_cmp_gt_i32_e64 s0, 1, v7
	v_cndmask_b32_e64 v22, v23, v22, s0
	v_cmp_ne_u32_e64 s0, 0, v9
	v_lshrrev_b32_e32 v23, 8, v10
	v_and_b32_e32 v25, 7, v22
	v_cndmask_b32_e64 v9, 0, 1, s0
	v_cmp_eq_u32_e64 s0, 0x40f, v17
	v_cmp_eq_u32_e64 s1, 3, v25
	v_and_or_b32 v9, 0xffe, v23, v9
	v_cndmask_b32_e64 v17, v21, v20, s0
	v_mul_f64 v[20:21], v[12:13], s[4:5]
	v_sub_nc_u32_e32 v12, 0x3f1, v24
	v_cmp_lt_i32_e64 s0, 5, v25
	v_or_b32_e32 v13, 0x1000, v9
	v_and_or_b32 v2, 0x8000, v2, v17
	v_lshrrev_b32_e32 v17, 2, v22
	v_med3_i32 v12, v12, 0, 13
	s_waitcnt lgkmcnt(0)
	v_lshrrev_b32_e32 v23, 16, v1
	s_or_b32 s0, s1, s0
	v_add_nc_u32_e32 v24, 0xfffffc10, v24
	v_add_co_ci_u32_e64 v17, s0, 0, v17, s0
	v_lshrrev_b32_e32 v25, v12, v13
	v_cmp_ne_u32_e64 s0, 0, v4
	v_mul_f16_sdwa v22, v146, v23 dst_sel:DWORD dst_unused:UNUSED_PAD src0_sel:WORD_1 src1_sel:DWORD
	v_and_b32_e32 v2, 0xffff, v2
	v_lshlrev_b32_e32 v12, v12, v25
	v_cndmask_b32_e64 v4, 0, 1, s0
	v_cmp_gt_i32_e64 s0, 31, v7
	v_fmac_f16_e32 v22, v146, v1
	v_mul_f16_sdwa v1, v146, v1 dst_sel:DWORD dst_unused:UNUSED_PAD src0_sel:WORD_1 src1_sel:DWORD
	v_and_or_b32 v20, 0x1ff, v21, v20
	v_lshl_or_b32 v4, v4, 9, 0x7c00
	v_cndmask_b32_e64 v17, 0x7c00, v17, s0
	v_cmp_ne_u32_e64 s0, v12, v13
	v_cvt_f32_f16_e32 v22, v22
	v_bfe_u32 v28, v21, 20, 11
	v_fma_f16 v1, v146, v23, -v1
	v_cndmask_b32_e64 v27, 0, 1, s0
	v_cmp_ne_u32_e64 s0, 0, v20
	v_cvt_f64_f32_e32 v[12:13], v22
	v_lshrrev_b32_e32 v22, 8, v21
	v_cvt_f32_f16_e32 v1, v1
	v_cndmask_b32_e64 v20, 0, 1, s0
	v_cmp_eq_u32_e64 s0, 0x40f, v7
	v_and_or_b32 v7, 0xffe, v22, v20
	v_cndmask_b32_e64 v4, v17, v4, s0
	v_sub_nc_u32_e32 v17, 0x3f1, v28
	v_or_b32_e32 v20, v25, v27
	v_lshl_or_b32 v22, v24, 12, v9
	v_cmp_gt_i32_e64 s0, 1, v24
	v_or_b32_e32 v25, 0x1000, v7
	v_med3_i32 v17, v17, 0, 13
	v_cndmask_b32_e64 v20, v22, v20, s0
	v_and_or_b32 v22, 0x8000, v5, v4
	v_lshrrev_b32_e32 v26, v17, v25
	v_mul_f64 v[4:5], v[12:13], s[4:5]
	v_and_b32_e32 v27, 7, v20
	v_lshl_or_b32 v29, v22, 16, v2
	v_lshlrev_b32_e32 v2, v17, v26
	v_lshrrev_b32_e32 v12, 2, v20
	v_add_nc_u32_e32 v17, 0xfffffc10, v28
	v_cmp_lt_i32_e64 s0, 5, v27
	v_cmp_eq_u32_e64 s1, 3, v27
	v_cmp_ne_u32_e64 s2, v2, v25
	v_lshl_or_b32 v13, v17, 12, v7
	s_or_b32 s0, s1, s0
	v_cndmask_b32_e64 v2, 0, 1, s2
	v_add_co_ci_u32_e64 v20, s0, 0, v12, s0
	v_cmp_ne_u32_e64 s0, 0, v9
	v_or_b32_e32 v12, v26, v2
	v_cvt_f64_f32_e32 v[1:2], v1
	v_cndmask_b32_e64 v9, 0, 1, s0
	v_cmp_gt_i32_e64 s0, 1, v17
	v_and_or_b32 v4, 0x1ff, v5, v4
	v_lshrrev_b32_e32 v25, 8, v5
	v_bfe_u32 v26, v5, 20, 11
	v_lshl_or_b32 v9, v9, 9, 0x7c00
	v_cndmask_b32_e64 v22, v13, v12, s0
	v_cmp_gt_i32_e64 s0, 31, v24
	ds_read2_b32 v[12:13], v91 offset0:16 offset1:76
	v_and_b32_e32 v23, 7, v22
	v_cndmask_b32_e64 v20, 0x7c00, v20, s0
	v_cmp_ne_u32_e64 s0, 0, v4
	v_cmp_eq_u32_e64 s1, 3, v23
	v_cndmask_b32_e64 v4, 0, 1, s0
	v_cmp_eq_u32_e64 s0, 0x40f, v24
	v_lshrrev_b32_e32 v24, 16, v10
	v_and_or_b32 v4, 0xffe, v25, v4
	v_cndmask_b32_e64 v20, v20, v9, s0
	v_cmp_lt_i32_e64 s0, 5, v23
	v_mul_f64 v[9:10], v[1:2], s[4:5]
	v_lshrrev_b32_e32 v1, 2, v22
	v_sub_nc_u32_e32 v25, 0x3f1, v26
	v_or_b32_e32 v2, 0x1000, v4
	s_or_b32 s0, s1, s0
	v_and_or_b32 v20, 0x8000, v24, v20
	v_add_co_ci_u32_e64 v1, s0, 0, v1, s0
	v_med3_i32 v22, v25, 0, 13
	v_cmp_ne_u32_e64 s0, 0, v7
	s_waitcnt lgkmcnt(0)
	v_lshrrev_b32_e32 v25, 16, v12
	v_add_nc_u32_e32 v26, 0xfffffc10, v26
	v_and_b32_e32 v20, 0xffff, v20
	v_lshrrev_b32_e32 v23, v22, v2
	v_cndmask_b32_e64 v7, 0, 1, s0
	v_cmp_gt_i32_e64 s0, 31, v17
	v_mul_f16_sdwa v27, v145, v25 dst_sel:DWORD dst_unused:UNUSED_PAD src0_sel:WORD_1 src1_sel:DWORD
	v_lshlrev_b32_e32 v22, v22, v23
	v_lshl_or_b32 v7, v7, 9, 0x7c00
	v_cndmask_b32_e64 v1, 0x7c00, v1, s0
	v_cmp_eq_u32_e64 s0, 0x40f, v17
	v_fmac_f16_e32 v27, v145, v12
	v_and_or_b32 v9, 0x1ff, v10, v9
	v_lshrrev_b32_e32 v17, 16, v21
	v_bfe_u32 v24, v10, 20, 11
	v_cndmask_b32_e64 v7, v1, v7, s0
	v_cmp_ne_u32_e64 s0, v22, v2
	v_cvt_f32_f16_e32 v1, v27
	v_lshrrev_b32_e32 v22, 8, v10
	v_and_or_b32 v7, 0x8000, v17, v7
	v_cndmask_b32_e64 v21, 0, 1, s0
	v_cmp_ne_u32_e64 s0, 0, v9
	v_cvt_f64_f32_e32 v[1:2], v1
	v_lshl_or_b32 v7, v7, 16, v20
	v_or_b32_e32 v17, v23, v21
	v_cndmask_b32_e64 v9, 0, 1, s0
	v_lshl_or_b32 v21, v26, 12, v4
	v_cmp_gt_i32_e64 s0, 1, v26
	v_and_or_b32 v9, 0xffe, v22, v9
	v_sub_nc_u32_e32 v22, 0x3f1, v24
	v_cndmask_b32_e64 v17, v21, v17, s0
	v_add_co_u32 v15, s0, v15, s6
	v_or_b32_e32 v27, 0x1000, v9
	v_med3_i32 v28, v22, 0, 13
	v_add_co_ci_u32_e64 v16, s0, s7, v16, s0
	v_and_b32_e32 v30, 7, v17
	v_add_co_u32 v22, s0, v15, s6
	v_lshrrev_b32_e32 v31, v28, v27
	v_mul_f64 v[20:21], v[1:2], s[4:5]
	v_mul_f16_sdwa v1, v145, v12 dst_sel:DWORD dst_unused:UNUSED_PAD src0_sel:WORD_1 src1_sel:DWORD
	v_add_co_ci_u32_e64 v23, s0, s7, v16, s0
	v_lshlrev_b32_e32 v2, v28, v31
	v_cmp_lt_i32_e64 s0, 5, v30
	v_cmp_eq_u32_e64 s1, 3, v30
	v_fma_f16 v1, v145, v25, -v1
	v_lshrrev_b32_e32 v12, 2, v17
	v_cmp_ne_u32_e64 s2, v2, v27
	v_add_nc_u32_e32 v17, 0xfffffc10, v24
	s_or_b32 s0, s1, s0
	v_cvt_f32_f16_e32 v1, v1
	v_add_co_ci_u32_e64 v12, s0, 0, v12, s0
	v_cndmask_b32_e64 v2, 0, 1, s2
	v_cmp_ne_u32_e64 s0, 0, v4
	v_cvt_f64_f32_e32 v[24:25], v1
	v_lshl_or_b32 v28, v17, 12, v9
	v_or_b32_e32 v27, v31, v2
	v_cndmask_b32_e64 v4, 0, 1, s0
	v_cmp_gt_i32_e64 s0, 1, v17
	v_and_or_b32 v20, 0x1ff, v21, v20
	ds_read2_b32 v[1:2], v91 offset0:136 offset1:232
	v_lshrrev_b32_e32 v30, 8, v21
	v_lshl_or_b32 v4, v4, 9, 0x7c00
	v_cndmask_b32_e64 v27, v28, v27, s0
	v_cmp_gt_i32_e64 s0, 31, v26
	v_bfe_u32 v31, v21, 20, 11
	global_store_dword v[15:16], v29, off
	global_store_dword v[22:23], v7, off
	v_and_b32_e32 v28, 7, v27
	v_cndmask_b32_e64 v12, 0x7c00, v12, s0
	v_cmp_ne_u32_e64 s0, 0, v20
	v_cmp_eq_u32_e64 s1, 3, v28
	v_cndmask_b32_e64 v20, 0, 1, s0
	v_cmp_eq_u32_e64 s0, 0x40f, v26
	v_lshrrev_b32_e32 v26, 16, v5
	v_and_or_b32 v20, 0xffe, v30, v20
	v_cndmask_b32_e64 v12, v12, v4, s0
	v_cmp_lt_i32_e64 s0, 5, v28
	v_mul_f64 v[4:5], v[24:25], s[4:5]
	v_lshrrev_b32_e32 v25, 2, v27
	v_sub_nc_u32_e32 v30, 0x3f1, v31
	v_or_b32_e32 v27, 0x1000, v20
	s_or_b32 s0, s1, s0
	s_waitcnt lgkmcnt(0)
	v_lshrrev_b32_e32 v24, 16, v2
	v_add_co_ci_u32_e64 v25, s0, 0, v25, s0
	v_med3_i32 v28, v30, 0, 13
	v_cmp_ne_u32_e64 s0, 0, v9
	v_mul_f16_sdwa v30, v144, v24 dst_sel:DWORD dst_unused:UNUSED_PAD src0_sel:WORD_1 src1_sel:DWORD
	v_and_or_b32 v12, 0x8000, v26, v12
	v_lshrrev_b32_e32 v32, v28, v27
	v_cndmask_b32_e64 v9, 0, 1, s0
	v_cmp_gt_i32_e64 s0, 31, v17
	v_fmac_f16_e32 v30, v144, v2
	v_and_b32_e32 v12, 0xffff, v12
	v_lshlrev_b32_e32 v26, v28, v32
	v_lshl_or_b32 v9, v9, 9, 0x7c00
	v_cndmask_b32_e64 v25, 0x7c00, v25, s0
	v_cmp_eq_u32_e64 s0, 0x40f, v17
	v_and_or_b32 v4, 0x1ff, v5, v4
	v_cvt_f32_f16_e32 v28, v30
	v_bfe_u32 v30, v5, 20, 11
	v_mul_f16_sdwa v2, v144, v2 dst_sel:DWORD dst_unused:UNUSED_PAD src0_sel:WORD_1 src1_sel:DWORD
	v_cndmask_b32_e64 v17, v25, v9, s0
	v_cmp_ne_u32_e64 s0, v26, v27
	v_lshrrev_b32_e32 v25, 16, v10
	v_cvt_f64_f32_e32 v[9:10], v28
	v_add_nc_u32_e32 v27, 0xfffffc10, v31
	v_lshrrev_b32_e32 v28, 8, v5
	v_cndmask_b32_e64 v26, 0, 1, s0
	v_cmp_ne_u32_e64 s0, 0, v4
	v_and_or_b32 v17, 0x8000, v25, v17
	v_fma_f16 v2, v144, v24, -v2
	v_lshrrev_b32_e32 v5, 16, v5
	v_or_b32_e32 v25, v32, v26
	v_cndmask_b32_e64 v4, 0, 1, s0
	v_lshl_or_b32 v26, v27, 12, v20
	v_cmp_gt_i32_e64 s0, 1, v27
	v_lshl_or_b32 v7, v17, 16, v12
	v_cvt_f32_f16_e32 v2, v2
	v_and_or_b32 v4, 0xffe, v28, v4
	v_sub_nc_u32_e32 v28, 0x3f1, v30
	v_cndmask_b32_e64 v25, v26, v25, s0
	v_add_co_u32 v22, s0, v22, s6
	v_or_b32_e32 v26, 0x1000, v4
	v_med3_i32 v28, v28, 0, 13
	v_and_b32_e32 v12, 7, v25
	v_mul_f64 v[15:16], v[9:10], s[4:5]
	v_add_co_ci_u32_e64 v23, s0, s7, v23, s0
	v_lshrrev_b32_e32 v17, v28, v26
	v_cmp_lt_i32_e64 s0, 5, v12
	v_cmp_eq_u32_e64 s1, 3, v12
	v_lshrrev_b32_e32 v10, 2, v25
	v_add_nc_u32_e32 v12, 0xfffffc10, v30
	v_lshlrev_b32_e32 v9, v28, v17
	v_cvt_f64_f32_e32 v[24:25], v2
	s_or_b32 s0, s1, s0
	global_store_dword v[22:23], v7, off
	v_lshl_or_b32 v2, v12, 12, v4
	v_cmp_ne_u32_e64 s2, v9, v26
	v_add_co_ci_u32_e64 v26, s0, 0, v10, s0
	v_cmp_ne_u32_e64 s0, 0, v20
	v_cndmask_b32_e64 v9, 0, 1, s2
	v_cndmask_b32_e64 v20, 0, 1, s0
	v_cmp_gt_i32_e64 s0, 1, v12
	v_or_b32_e32 v17, v17, v9
	ds_read2_b32 v[9:10], v87 offset0:192 offset1:252
	v_and_or_b32 v15, 0x1ff, v16, v15
	v_lshl_or_b32 v20, v20, 9, 0x7c00
	v_lshrrev_b32_e32 v28, 8, v16
	v_cndmask_b32_e64 v2, v2, v17, s0
	v_cmp_gt_i32_e64 s0, 31, v27
	v_bfe_u32 v29, v16, 20, 11
	v_cndmask_b32_e64 v17, 0x7c00, v26, s0
	v_cmp_ne_u32_e64 s0, 0, v15
	v_and_b32_e32 v26, 7, v2
	v_lshrrev_b32_e32 v2, 2, v2
	v_cndmask_b32_e64 v15, 0, 1, s0
	v_cmp_eq_u32_e64 s0, 0x40f, v27
	v_cmp_eq_u32_e64 s1, 3, v26
	v_lshrrev_b32_e32 v27, 16, v21
	s_waitcnt lgkmcnt(0)
	v_lshrrev_b32_e32 v30, 16, v9
	v_and_or_b32 v15, 0xffe, v28, v15
	v_cndmask_b32_e64 v17, v17, v20, s0
	v_cmp_lt_i32_e64 s0, 5, v26
	v_mul_f64 v[20:21], v[24:25], s[4:5]
	v_sub_nc_u32_e32 v28, 0x3f1, v29
	v_or_b32_e32 v26, 0x1000, v15
	v_mul_f16_sdwa v25, v143, v30 dst_sel:DWORD dst_unused:UNUSED_PAD src0_sel:WORD_1 src1_sel:DWORD
	s_or_b32 s0, s1, s0
	v_and_or_b32 v17, 0x8000, v27, v17
	v_add_co_ci_u32_e64 v2, s0, 0, v2, s0
	v_med3_i32 v24, v28, 0, 13
	v_cmp_ne_u32_e64 s0, 0, v4
	v_fmac_f16_e32 v25, v143, v9
	v_and_b32_e32 v17, 0xffff, v17
	v_mul_f16_sdwa v9, v143, v9 dst_sel:DWORD dst_unused:UNUSED_PAD src0_sel:WORD_1 src1_sel:DWORD
	v_lshrrev_b32_e32 v28, v24, v26
	v_cndmask_b32_e64 v4, 0, 1, s0
	v_cmp_gt_i32_e64 s0, 31, v12
	v_cvt_f32_f16_e32 v25, v25
	v_lshlrev_b32_e32 v27, v24, v28
	v_lshl_or_b32 v4, v4, 9, 0x7c00
	v_cndmask_b32_e64 v2, 0x7c00, v2, s0
	v_cmp_eq_u32_e64 s0, 0x40f, v12
	v_cvt_f64_f32_e32 v[24:25], v25
	v_cndmask_b32_e64 v2, v2, v4, s0
	v_and_or_b32 v4, 0x1ff, v21, v20
	v_cmp_ne_u32_e64 s0, v27, v26
	v_add_nc_u32_e32 v20, 0xfffffc10, v29
	v_lshrrev_b32_e32 v26, 8, v21
	v_bfe_u32 v27, v21, 20, 11
	v_and_or_b32 v2, 0x8000, v5, v2
	v_cndmask_b32_e64 v12, 0, 1, s0
	v_cmp_ne_u32_e64 s0, 0, v4
	v_lshrrev_b32_e32 v21, 16, v21
	v_lshl_or_b32 v2, v2, 16, v17
	v_or_b32_e32 v5, v28, v12
	v_cndmask_b32_e64 v4, 0, 1, s0
	v_lshl_or_b32 v12, v20, 12, v15
	v_cmp_gt_i32_e64 s0, 1, v20
	v_and_or_b32 v28, 0xffe, v26, v4
	v_sub_nc_u32_e32 v4, 0x3f1, v27
	v_cndmask_b32_e64 v5, v12, v5, s0
	v_mul_f64 v[24:25], v[24:25], s[4:5]
	v_add_co_u32 v22, s0, v22, s6
	v_or_b32_e32 v12, 0x1000, v28
	v_med3_i32 v4, v4, 0, 13
	v_and_b32_e32 v7, 7, v5
	v_add_co_ci_u32_e64 v23, s0, s7, v23, s0
	v_lshrrev_b32_e32 v5, 2, v5
	v_lshrrev_b32_e32 v17, v4, v12
	v_cmp_lt_i32_e64 s0, 5, v7
	v_cmp_eq_u32_e64 s1, 3, v7
	v_fma_f16 v7, v143, v30, -v9
	v_add_nc_u32_e32 v9, 0xfffffc10, v27
	v_lshlrev_b32_e32 v4, v4, v17
	global_store_dword v[22:23], v2, off
	s_or_b32 s0, s1, s0
	v_cvt_f32_f16_e32 v7, v7
	v_lshl_or_b32 v29, v9, 12, v28
	v_cmp_ne_u32_e64 s2, v4, v12
	v_add_co_ci_u32_e64 v12, s0, 0, v5, s0
	v_cmp_ne_u32_e64 s0, 0, v15
	v_cvt_f64_f32_e32 v[26:27], v7
	v_cndmask_b32_e64 v4, 0, 1, s2
	v_and_or_b32 v7, 0x1ff, v25, v24
	v_lshrrev_b32_e32 v24, 8, v25
	v_cndmask_b32_e64 v15, 0, 1, s0
	v_cmp_gt_i32_e64 s0, 1, v9
	v_or_b32_e32 v17, v17, v4
	ds_read2_b32 v[4:5], v90 offset0:56 offset1:152
	v_add_co_u32 v22, s2, v22, s6
	v_lshl_or_b32 v15, v15, 9, 0x7c00
	v_cndmask_b32_e64 v17, v29, v17, s0
	v_cmp_ne_u32_e64 s0, 0, v7
	v_bfe_u32 v29, v25, 20, 11
	v_add_co_ci_u32_e64 v23, s2, s7, v23, s2
	v_and_b32_e32 v30, 7, v17
	v_cndmask_b32_e64 v7, 0, 1, s0
	v_cmp_gt_i32_e64 s0, 31, v20
	v_lshrrev_b32_e32 v17, 2, v17
	v_cmp_eq_u32_e64 s1, 3, v30
	v_and_or_b32 v7, 0xffe, v24, v7
	v_cndmask_b32_e64 v12, 0x7c00, v12, s0
	v_cmp_eq_u32_e64 s0, 0x40f, v20
	v_sub_nc_u32_e32 v20, 0x3f1, v29
	v_lshrrev_b32_e32 v24, 16, v16
	v_or_b32_e32 v31, 0x1000, v7
	s_waitcnt lgkmcnt(0)
	v_lshrrev_b32_e32 v32, 16, v5
	v_cndmask_b32_e64 v12, v12, v15, s0
	v_cmp_lt_i32_e64 s0, 5, v30
	v_mul_f64 v[15:16], v[26:27], s[4:5]
	v_med3_i32 v20, v20, 0, 13
	v_mul_f16_sdwa v26, v142, v32 dst_sel:DWORD dst_unused:UNUSED_PAD src0_sel:WORD_1 src1_sel:DWORD
	v_and_or_b32 v12, 0x8000, v24, v12
	s_or_b32 s0, s1, s0
	v_add_co_ci_u32_e64 v17, s0, 0, v17, s0
	v_lshrrev_b32_e32 v24, v20, v31
	v_cmp_ne_u32_e64 s0, 0, v28
	v_fmac_f16_e32 v26, v142, v5
	v_add_nc_u32_e32 v28, 0xfffffc10, v29
	v_and_b32_e32 v12, 0xffff, v12
	v_lshlrev_b32_e32 v20, v20, v24
	v_cndmask_b32_e64 v27, 0, 1, s0
	v_cmp_gt_i32_e64 s0, 31, v9
	v_cvt_f32_f16_e32 v26, v26
	v_mul_f16_sdwa v5, v142, v5 dst_sel:DWORD dst_unused:UNUSED_PAD src0_sel:WORD_1 src1_sel:DWORD
	v_lshl_or_b32 v27, v27, 9, 0x7c00
	v_cndmask_b32_e64 v17, 0x7c00, v17, s0
	v_cmp_ne_u32_e64 s0, v20, v31
	v_and_or_b32 v15, 0x1ff, v16, v15
	v_bfe_u32 v29, v16, 20, 11
	v_fma_f16 v5, v142, v32, -v5
	v_cndmask_b32_e64 v20, 0, 1, s0
	v_cmp_eq_u32_e64 s0, 0x40f, v9
	v_cvt_f32_f16_e32 v5, v5
	v_cndmask_b32_e64 v9, v17, v27, s0
	v_cmp_ne_u32_e64 s0, 0, v15
	v_or_b32_e32 v17, v24, v20
	v_lshl_or_b32 v20, v28, 12, v7
	v_lshrrev_b32_e32 v24, 8, v16
	v_cvt_f64_f32_e32 v[26:27], v26
	v_cndmask_b32_e64 v15, 0, 1, s0
	v_cmp_gt_i32_e64 s0, 1, v28
	v_and_or_b32 v9, 0x8000, v21, v9
	v_and_or_b32 v15, 0xffe, v24, v15
	v_cndmask_b32_e64 v17, v20, v17, s0
	v_sub_nc_u32_e32 v20, 0x3f1, v29
	v_lshl_or_b32 v9, v9, 16, v12
	v_add_nc_u32_e32 v29, 0xfffffc10, v29
	v_or_b32_e32 v24, 0x1000, v15
	v_and_b32_e32 v21, 7, v17
	v_med3_i32 v30, v20, 0, 13
	v_lshrrev_b32_e32 v12, 2, v17
	global_store_dword v[22:23], v9, off
	v_mad_u64_u32 v[22:23], null, 0x6c0, s8, v[22:23]
	v_lshrrev_b32_e32 v2, v30, v24
	v_cmp_lt_i32_e64 s0, 5, v21
	v_cmp_eq_u32_e64 s1, 3, v21
	v_mul_f64 v[20:21], v[26:27], s[4:5]
	v_lshlrev_b32_e32 v17, v30, v2
	v_cvt_f64_f32_e32 v[26:27], v5
	s_or_b32 s0, s1, s0
	v_lshl_or_b32 v5, v29, 12, v15
	v_add_co_ci_u32_e64 v12, s0, 0, v12, s0
	v_cmp_ne_u32_e64 s0, v17, v24
	v_add_nc_u32_e32 v23, s3, v23
	v_cndmask_b32_e64 v17, 0, 1, s0
	v_cmp_ne_u32_e64 s0, 0, v7
	v_or_b32_e32 v2, v2, v17
	v_cndmask_b32_e64 v7, 0, 1, s0
	v_cmp_gt_i32_e64 s0, 31, v28
	v_lshl_or_b32 v7, v7, 9, 0x7c00
	v_cndmask_b32_e64 v12, 0x7c00, v12, s0
	v_cmp_gt_i32_e64 s0, 1, v29
	v_cndmask_b32_e64 v2, v5, v2, s0
	v_and_or_b32 v5, 0x1ff, v21, v20
	v_cmp_eq_u32_e64 s0, 0x40f, v28
	v_lshrrev_b32_e32 v20, 8, v21
	v_bfe_u32 v28, v21, 20, 11
	v_and_b32_e32 v17, 7, v2
	v_lshrrev_b32_e32 v2, 2, v2
	v_cndmask_b32_e64 v7, v12, v7, s0
	v_cmp_ne_u32_e64 s0, 0, v5
	v_lshrrev_b32_e32 v12, 16, v25
	v_cmp_eq_u32_e64 s1, 3, v17
	v_mul_f64 v[24:25], v[26:27], s[4:5]
	v_mad_u64_u32 v[26:27], null, s8, v139, 0
	v_cndmask_b32_e64 v5, 0, 1, s0
	v_cmp_lt_i32_e64 s0, 5, v17
	v_sub_nc_u32_e32 v17, 0x3f1, v28
	v_and_or_b32 v7, 0x8000, v12, v7
	v_lshrrev_b32_e32 v12, 16, v14
	v_and_or_b32 v5, 0xffe, v20, v5
	s_or_b32 s0, s1, s0
	v_med3_i32 v17, v17, 0, 13
	v_add_co_ci_u32_e64 v2, s0, 0, v2, s0
	v_cmp_ne_u32_e64 s0, 0, v15
	v_or_b32_e32 v20, 0x1000, v5
	v_and_b32_e32 v7, 0xffff, v7
	v_lshrrev_b32_e32 v21, 16, v21
	v_cndmask_b32_e64 v15, 0, 1, s0
	v_cmp_gt_i32_e64 s0, 31, v29
	v_lshrrev_b32_e32 v30, v17, v20
	v_and_or_b32 v24, 0x1ff, v25, v24
	v_lshl_or_b32 v15, v15, 9, 0x7c00
	v_cndmask_b32_e64 v2, 0x7c00, v2, s0
	v_cmp_eq_u32_e64 s0, 0x40f, v29
	v_bfe_u32 v31, v25, 20, 11
	v_cndmask_b32_e64 v29, v2, v15, s0
	v_lshlrev_b32_e32 v15, v17, v30
	v_lshrrev_b32_e32 v17, 16, v16
	v_mul_f16_sdwa v16, v141, v12 dst_sel:DWORD dst_unused:UNUSED_PAD src0_sel:WORD_1 src1_sel:DWORD
	v_mov_b32_e32 v2, v27
	v_lshrrev_b32_e32 v27, 8, v25
	v_cmp_ne_u32_e64 s0, v15, v20
	v_add_nc_u32_e32 v20, 0xfffffc10, v28
	v_fmac_f16_e32 v16, v141, v14
	v_sub_nc_u32_e32 v33, 0x3f1, v31
	v_and_or_b32 v17, 0x8000, v17, v29
	v_cndmask_b32_e64 v15, 0, 1, s0
	v_cmp_ne_u32_e64 s0, 0, v24
	v_cvt_f32_f16_e32 v16, v16
	v_lshl_or_b32 v32, v20, 12, v5
	v_mul_f16_sdwa v14, v141, v14 dst_sel:DWORD dst_unused:UNUSED_PAD src0_sel:WORD_1 src1_sel:DWORD
	v_or_b32_e32 v30, v30, v15
	v_cndmask_b32_e64 v24, 0, 1, s0
	v_cvt_f64_f32_e32 v[15:16], v16
	v_cmp_gt_i32_e64 s0, 1, v20
	v_lshl_or_b32 v7, v17, 16, v7
	v_fma_f16 v12, v141, v12, -v14
	v_and_or_b32 v24, 0xffe, v27, v24
	v_mad_u64_u32 v[27:28], null, s9, v139, v[2:3]
	v_med3_i32 v28, v33, 0, 13
	v_cndmask_b32_e64 v30, v32, v30, s0
	v_or_b32_e32 v2, 0x1000, v24
	v_cvt_f32_f16_e32 v12, v12
	v_and_b32_e32 v29, 7, v30
	v_lshrrev_b32_e32 v9, v28, v2
	v_lshlrev_b64 v[26:27], 2, v[26:27]
	v_cmp_lt_i32_e64 s0, 5, v29
	v_lshlrev_b32_e32 v17, v28, v9
	v_cmp_eq_u32_e64 s1, 3, v29
	v_lshrrev_b32_e32 v28, 2, v30
	v_mul_f64 v[15:16], v[15:16], s[4:5]
	v_cmp_ne_u32_e64 s2, v17, v2
	s_or_b32 s0, s1, s0
	v_add_nc_u32_e32 v17, 0xfffffc10, v31
	v_add_co_ci_u32_e64 v14, s0, 0, v28, s0
	v_cndmask_b32_e64 v2, 0, 1, s2
	v_cmp_ne_u32_e64 s0, 0, v5
	v_cvt_f64_f32_e32 v[28:29], v12
	v_or_b32_e32 v2, v9, v2
	v_lshl_or_b32 v9, v17, 12, v24
	v_cndmask_b32_e64 v5, 0, 1, s0
	v_cmp_gt_i32_e64 s0, 1, v17
	v_lshl_or_b32 v5, v5, 9, 0x7c00
	v_cndmask_b32_e64 v2, v9, v2, s0
	v_cmp_gt_i32_e64 s0, 31, v20
	v_and_b32_e32 v12, 7, v2
	v_cndmask_b32_e64 v9, 0x7c00, v14, s0
	v_add_co_u32 v26, s0, v18, v26
	v_add_co_ci_u32_e64 v27, s0, v19, v27, s0
	v_cmp_eq_u32_e64 s0, 0x40f, v20
	v_and_or_b32 v14, 0x1ff, v16, v15
	v_cmp_eq_u32_e64 s1, 3, v12
	v_mul_f64 v[28:29], v[28:29], s[4:5]
	v_lshrrev_b32_e32 v2, 2, v2
	v_cndmask_b32_e64 v5, v9, v5, s0
	v_cmp_lt_i32_e64 s0, 5, v12
	v_cmp_ne_u32_e64 s2, 0, v14
	v_lshrrev_b32_e32 v12, 8, v16
	v_bfe_u32 v20, v16, 20, 11
	ds_read2_b32 v[14:15], v89 offset0:20 offset1:80
	s_or_b32 s0, s1, s0
	v_cndmask_b32_e64 v9, 0, 1, s2
	v_add_co_ci_u32_e64 v2, s0, 0, v2, s0
	v_cmp_ne_u32_e64 s0, 0, v24
	v_and_or_b32 v5, 0x8000, v21, v5
	v_and_or_b32 v9, 0xffe, v12, v9
	v_sub_nc_u32_e32 v12, 0x3f1, v20
	global_store_dword v[26:27], v7, off
	v_cndmask_b32_e64 v24, 0, 1, s0
	v_cmp_gt_i32_e64 s0, 31, v17
	v_or_b32_e32 v30, 0x1000, v9
	v_med3_i32 v12, v12, 0, 13
	v_and_b32_e32 v5, 0xffff, v5
	v_lshl_or_b32 v24, v24, 9, 0x7c00
	v_cndmask_b32_e64 v2, 0x7c00, v2, s0
	v_cmp_eq_u32_e64 s0, 0x40f, v17
	v_and_or_b32 v28, 0x1ff, v29, v28
	v_lshrrev_b32_e32 v17, 16, v25
	s_waitcnt lgkmcnt(0)
	v_lshrrev_b32_e32 v25, 16, v14
	v_bfe_u32 v31, v29, 20, 11
	v_cndmask_b32_e64 v2, v2, v24, s0
	v_lshrrev_b32_e32 v24, v12, v30
	v_cmp_ne_u32_e64 s0, 0, v28
	v_lshrrev_b32_e32 v28, 8, v29
	v_and_or_b32 v2, 0x8000, v17, v2
	v_lshlrev_b32_e32 v12, v12, v24
	v_cndmask_b32_e64 v21, 0, 1, s0
	v_mul_f16_sdwa v17, v140, v25 dst_sel:DWORD dst_unused:UNUSED_PAD src0_sel:WORD_1 src1_sel:DWORD
	v_lshl_or_b32 v2, v2, 16, v5
	v_cmp_ne_u32_e64 s0, v12, v30
	v_add_nc_u32_e32 v30, 0xfffffc10, v20
	v_fmac_f16_e32 v17, v140, v14
	v_and_or_b32 v28, 0xffe, v28, v21
	v_sub_nc_u32_e32 v20, 0x3f1, v31
	v_cndmask_b32_e64 v12, 0, 1, s0
	v_cmp_gt_i32_e64 s0, 1, v30
	v_cvt_f32_f16_e32 v17, v17
	v_or_b32_e32 v32, 0x1000, v28
	v_med3_i32 v33, v20, 0, 13
	v_or_b32_e32 v12, v24, v12
	v_lshl_or_b32 v24, v30, 12, v9
	v_cvt_f64_f32_e32 v[20:21], v17
	v_mul_f16_sdwa v14, v140, v14 dst_sel:DWORD dst_unused:UNUSED_PAD src0_sel:WORD_1 src1_sel:DWORD
	v_lshrrev_b32_e32 v7, v33, v32
	global_store_dword v[22:23], v2, off
	v_cndmask_b32_e64 v12, v24, v12, s0
	v_fma_f16 v14, v140, v25, -v14
	v_lshlrev_b32_e32 v5, v33, v7
	v_and_b32_e32 v17, 7, v12
	v_lshrrev_b32_e32 v12, 2, v12
	v_cvt_f32_f16_e32 v14, v14
	v_cmp_ne_u32_e64 s2, v5, v32
	v_cmp_lt_i32_e64 s0, 5, v17
	v_cmp_eq_u32_e64 s1, 3, v17
	v_add_nc_u32_e32 v17, 0xfffffc10, v31
	v_cndmask_b32_e64 v5, 0, 1, s2
	v_cvt_f64_f32_e32 v[24:25], v14
	s_or_b32 s0, s1, s0
	v_add_co_ci_u32_e64 v12, s0, 0, v12, s0
	v_cmp_ne_u32_e64 s0, 0, v9
	v_or_b32_e32 v5, v7, v5
	v_lshl_or_b32 v7, v17, 12, v28
	v_mul_f64 v[20:21], v[20:21], s[4:5]
	v_cndmask_b32_e64 v9, 0, 1, s0
	v_cmp_gt_i32_e64 s0, 1, v17
	v_lshl_or_b32 v9, v9, 9, 0x7c00
	v_cndmask_b32_e64 v5, v7, v5, s0
	v_cmp_gt_i32_e64 s0, 31, v30
	v_lshrrev_b32_e32 v2, 2, v5
	v_cndmask_b32_e64 v7, 0x7c00, v12, s0
	v_and_b32_e32 v12, 7, v5
	v_cmp_eq_u32_e64 s0, 0x40f, v30
	v_mul_f64 v[24:25], v[24:25], s[4:5]
	v_cmp_eq_u32_e64 s1, 3, v12
	v_cndmask_b32_e64 v7, v7, v9, s0
	v_cmp_lt_i32_e64 s0, 5, v12
	v_lshrrev_b32_e32 v9, 16, v16
	v_lshrrev_b32_e32 v12, 8, v21
	v_bfe_u32 v14, v21, 20, 11
	s_or_b32 s0, s1, s0
	v_and_or_b32 v5, 0x8000, v9, v7
	v_add_co_ci_u32_e64 v2, s0, 0, v2, s0
	v_and_or_b32 v7, 0x1ff, v21, v20
	v_cmp_ne_u32_e64 s0, 0, v28
	v_lshrrev_b32_e32 v20, 16, v11
	s_mul_i32 s1, s9, 0xfffff8a4
	v_and_b32_e32 v5, 0xffff, v5
	v_cndmask_b32_e64 v9, 0, 1, s0
	v_cmp_ne_u32_e64 s0, 0, v7
	v_mul_f16_sdwa v16, v138, v20 dst_sel:DWORD dst_unused:UNUSED_PAD src0_sel:WORD_1 src1_sel:DWORD
	v_lshrrev_b32_e32 v28, 8, v25
	v_lshl_or_b32 v9, v9, 9, 0x7c00
	v_cndmask_b32_e64 v7, 0, 1, s0
	v_cmp_gt_i32_e64 s0, 31, v17
	v_fmac_f16_e32 v16, v138, v11
	v_mul_f16_sdwa v11, v138, v11 dst_sel:DWORD dst_unused:UNUSED_PAD src0_sel:WORD_1 src1_sel:DWORD
	v_and_or_b32 v7, 0xffe, v12, v7
	v_sub_nc_u32_e32 v12, 0x3f1, v14
	v_cndmask_b32_e64 v2, 0x7c00, v2, s0
	v_cmp_eq_u32_e64 s0, 0x40f, v17
	v_and_or_b32 v17, 0x1ff, v25, v24
	v_or_b32_e32 v26, 0x1000, v7
	v_med3_i32 v12, v12, 0, 13
	v_add_nc_u32_e32 v14, 0xfffffc10, v14
	v_cndmask_b32_e64 v2, v2, v9, s0
	v_lshrrev_b32_e32 v9, 16, v29
	s_mul_hi_u32 s0, s8, 0xfffff8a4
	v_lshrrev_b32_e32 v27, v12, v26
	s_sub_i32 s0, s0, s8
	v_bfe_u32 v29, v25, 20, 11
	v_and_or_b32 v2, 0x8000, v9, v2
	s_add_i32 s11, s0, s1
	v_lshlrev_b32_e32 v9, v12, v27
	v_cvt_f32_f16_e32 v12, v16
	v_cmp_ne_u32_e64 s0, 0, v17
	v_fma_f16 v11, v138, v20, -v11
	v_lshl_or_b32 v2, v2, 16, v5
	s_lshl_b64 s[10:11], s[10:11], 2
	v_cvt_f64_f32_e32 v[16:17], v12
	v_cndmask_b32_e64 v24, 0, 1, s0
	v_cmp_ne_u32_e64 s0, v9, v26
	v_sub_nc_u32_e32 v12, 0x3f1, v29
	v_lshl_or_b32 v26, v14, 12, v7
	v_cvt_f32_f16_e32 v5, v11
	v_and_or_b32 v24, 0xffe, v28, v24
	v_cndmask_b32_e64 v9, 0, 1, s0
	v_med3_i32 v12, v12, 0, 13
	v_cmp_gt_i32_e64 s0, 1, v14
	v_or_b32_e32 v9, v27, v9
	v_or_b32_e32 v27, 0x1000, v24
	v_cndmask_b32_e64 v9, v26, v9, s0
	v_lshrrev_b32_e32 v20, v12, v27
	v_add_co_u32 v22, s0, v22, s10
	v_add_co_ci_u32_e64 v23, s0, s11, v23, s0
	v_lshlrev_b32_e32 v28, v12, v20
	v_mul_f64 v[11:12], v[16:17], s[4:5]
	v_cvt_f64_f32_e32 v[16:17], v5
	v_and_b32_e32 v26, 7, v9
	v_lshrrev_b32_e32 v5, 2, v9
	v_cmp_ne_u32_e64 s2, v28, v27
	v_add_nc_u32_e32 v28, 0xfffffc10, v29
	global_store_dword v[22:23], v2, off
	v_cmp_lt_i32_e64 s0, 5, v26
	v_cmp_eq_u32_e64 s1, 3, v26
	v_cndmask_b32_e64 v9, 0, 1, s2
	v_cmp_eq_u32_e64 s2, 0x40f, v14
	s_or_b32 s0, s1, s0
	v_or_b32_e32 v9, v20, v9
	v_add_co_ci_u32_e64 v5, s0, 0, v5, s0
	v_cmp_gt_i32_e64 s0, 31, v14
	v_lshl_or_b32 v20, v28, 12, v24
	v_lshrrev_b32_e32 v14, 16, v21
	v_cndmask_b32_e64 v2, 0x7c00, v5, s0
	v_cmp_gt_i32_e64 s0, 1, v28
	v_mul_f64 v[26:27], v[16:17], s[4:5]
	ds_read2_b32 v[16:17], v88 offset0:68 offset1:128
	v_bfe_u32 v29, v12, 20, 11
	v_cndmask_b32_e64 v5, v20, v9, s0
	v_and_or_b32 v9, 0x1ff, v12, v11
	v_cmp_ne_u32_e64 s0, 0, v7
	v_lshrrev_b32_e32 v20, 8, v12
	v_and_b32_e32 v11, 7, v5
	v_lshrrev_b32_e32 v5, 2, v5
	v_cndmask_b32_e64 v7, 0, 1, s0
	v_cmp_ne_u32_e64 s0, 0, v9
	v_cmp_eq_u32_e64 s1, 3, v11
	v_lshl_or_b32 v7, v7, 9, 0x7c00
	v_cndmask_b32_e64 v9, 0, 1, s0
	v_cmp_lt_i32_e64 s0, 5, v11
	v_sub_nc_u32_e32 v11, 0x3f1, v29
	v_cndmask_b32_e64 v2, v2, v7, s2
	v_and_or_b32 v9, 0xffe, v20, v9
	s_or_b32 s0, s1, s0
	v_med3_i32 v11, v11, 0, 13
	v_add_co_ci_u32_e64 v5, s0, 0, v5, s0
	v_or_b32_e32 v7, 0x1000, v9
	v_and_or_b32 v21, 0x1ff, v27, v26
	v_cmp_gt_i32_e64 s0, 31, v28
	s_waitcnt lgkmcnt(0)
	v_lshrrev_b32_e32 v26, 16, v16
	v_lshrrev_b32_e32 v30, 8, v27
	;; [unrolled: 1-line block ×3, first 2 shown]
	v_bfe_u32 v32, v27, 20, 11
	v_cndmask_b32_e64 v5, 0x7c00, v5, s0
	v_cmp_ne_u32_e64 s0, 0, v21
	v_mul_f16_sdwa v31, v137, v26 dst_sel:DWORD dst_unused:UNUSED_PAD src0_sel:WORD_1 src1_sel:DWORD
	v_lshlrev_b32_e32 v11, v11, v20
	v_and_or_b32 v2, 0x8000, v14, v2
	v_mul_f16_sdwa v14, v137, v16 dst_sel:DWORD dst_unused:UNUSED_PAD src0_sel:WORD_1 src1_sel:DWORD
	v_cndmask_b32_e64 v21, 0, 1, s0
	v_cmp_ne_u32_e64 s0, 0, v24
	v_fmac_f16_e32 v31, v137, v16
	v_and_b32_e32 v2, 0xffff, v2
	v_fma_f16 v14, v137, v26, -v14
	v_and_or_b32 v30, 0xffe, v30, v21
	v_cndmask_b32_e64 v24, 0, 1, s0
	v_sub_nc_u32_e32 v21, 0x3f1, v32
	v_cmp_ne_u32_e64 s0, v11, v7
	v_add_nc_u32_e32 v11, 0xfffffc10, v29
	v_cvt_f32_f16_e32 v29, v31
	v_or_b32_e32 v31, 0x1000, v30
	v_med3_i32 v33, v21, 0, 13
	v_cndmask_b32_e64 v7, 0, 1, s0
	v_lshl_or_b32 v24, v24, 9, 0x7c00
	v_cmp_eq_u32_e64 s0, 0x40f, v28
	v_add_nc_u32_e32 v28, 0xfffffc10, v32
	v_lshrrev_b32_e32 v34, v33, v31
	v_or_b32_e32 v7, v20, v7
	v_cvt_f64_f32_e32 v[20:21], v29
	v_lshl_or_b32 v29, v11, 12, v9
	v_cndmask_b32_e64 v5, v5, v24, s0
	v_lshrrev_b32_e32 v24, 16, v25
	v_cmp_gt_i32_e64 s0, 1, v11
	v_lshlrev_b32_e32 v25, v33, v34
	v_cvt_f32_f16_e32 v14, v14
	v_cmp_gt_i32_e64 s2, 1, v28
	v_and_or_b32 v5, 0x8000, v24, v5
	v_cndmask_b32_e64 v7, v29, v7, s0
	v_cmp_ne_u32_e64 s0, v25, v31
	v_lshrrev_b32_e32 v27, 16, v27
	v_lshl_or_b32 v2, v5, 16, v2
	v_and_b32_e32 v16, 7, v7
	v_cndmask_b32_e64 v24, 0, 1, s0
	v_lshrrev_b32_e32 v7, 2, v7
	v_cmp_lt_i32_e64 s0, 5, v16
	v_cmp_eq_u32_e64 s1, 3, v16
	v_or_b32_e32 v16, v34, v24
	v_lshl_or_b32 v24, v28, 12, v30
	v_mul_f64 v[20:21], v[20:21], s[4:5]
	s_or_b32 s0, s1, s0
	v_cndmask_b32_e64 v16, v24, v16, s2
	v_cvt_f64_f32_e32 v[24:25], v14
	v_add_co_ci_u32_e64 v7, s0, 0, v7, s0
	v_cmp_ne_u32_e64 s0, 0, v9
	v_and_b32_e32 v14, 7, v16
	v_cmp_eq_u32_e64 s2, 0x40f, v11
	v_cndmask_b32_e64 v9, 0, 1, s0
	v_cmp_gt_i32_e64 s0, 31, v11
	v_cmp_eq_u32_e64 s1, 3, v14
	v_lshl_or_b32 v9, v9, 9, 0x7c00
	v_cndmask_b32_e64 v7, 0x7c00, v7, s0
	v_cmp_lt_i32_e64 s0, 5, v14
	v_and_or_b32 v14, 0x1ff, v21, v20
	v_lshrrev_b32_e32 v20, 8, v21
	v_cndmask_b32_e64 v5, v7, v9, s2
	v_lshrrev_b32_e32 v7, 2, v16
	s_or_b32 s0, s1, s0
	v_lshrrev_b32_e32 v9, 16, v12
	v_mul_f64 v[11:12], v[24:25], s[4:5]
	v_lshrrev_b32_e32 v16, 16, v8
	v_add_co_ci_u32_e64 v7, s0, 0, v7, s0
	v_cmp_ne_u32_e64 s0, 0, v14
	v_bfe_u32 v26, v21, 20, 11
	v_mul_f16_sdwa v24, v136, v16 dst_sel:DWORD dst_unused:UNUSED_PAD src0_sel:WORD_1 src1_sel:DWORD
	v_and_or_b32 v5, 0x8000, v9, v5
	v_cndmask_b32_e64 v14, 0, 1, s0
	v_cmp_ne_u32_e64 s0, 0, v30
	v_fmac_f16_e32 v24, v136, v8
	v_and_b32_e32 v5, 0xffff, v5
	v_mul_f16_sdwa v8, v136, v8 dst_sel:DWORD dst_unused:UNUSED_PAD src0_sel:WORD_1 src1_sel:DWORD
	v_and_or_b32 v14, 0xffe, v20, v14
	v_sub_nc_u32_e32 v20, 0x3f1, v26
	v_cndmask_b32_e64 v25, 0, 1, s0
	v_cmp_gt_i32_e64 s0, 31, v28
	v_cvt_f32_f16_e32 v24, v24
	v_or_b32_e32 v29, 0x1000, v14
	v_med3_i32 v20, v20, 0, 13
	v_lshl_or_b32 v25, v25, 9, 0x7c00
	v_cndmask_b32_e64 v7, 0x7c00, v7, s0
	v_cmp_eq_u32_e64 s0, 0x40f, v28
	v_and_or_b32 v11, 0x1ff, v12, v11
	v_lshrrev_b32_e32 v28, v20, v29
	v_bfe_u32 v30, v12, 20, 11
	v_cndmask_b32_e64 v7, v7, v25, s0
	v_add_co_u32 v22, s0, v22, s6
	v_cvt_f64_f32_e32 v[24:25], v24
	v_add_co_ci_u32_e64 v23, s0, s7, v23, s0
	v_lshlrev_b32_e32 v9, v20, v28
	v_cmp_ne_u32_e64 s0, 0, v11
	v_lshrrev_b32_e32 v20, 8, v12
	v_and_or_b32 v7, 0x8000, v27, v7
	global_store_dword v[22:23], v2, off
	v_fma_f16 v2, v136, v16, -v8
	v_cndmask_b32_e64 v11, 0, 1, s0
	v_cmp_ne_u32_e64 s0, v9, v29
	v_add_nc_u32_e32 v29, 0xfffffc10, v26
	v_lshl_or_b32 v5, v7, 16, v5
	v_cvt_f32_f16_e32 v2, v2
	v_and_or_b32 v11, 0xffe, v20, v11
	v_cndmask_b32_e64 v9, 0, 1, s0
	v_sub_nc_u32_e32 v20, 0x3f1, v30
	v_lshl_or_b32 v26, v29, 12, v14
	v_cmp_gt_i32_e64 s0, 1, v29
	v_add_nc_u32_e32 v16, 0xfffffc10, v30
	v_or_b32_e32 v9, v28, v9
	v_or_b32_e32 v28, 0x1000, v11
	v_med3_i32 v20, v20, 0, 13
	v_mul_f64 v[24:25], v[24:25], s[4:5]
	v_cmp_gt_i32_e64 s2, 31, v29
	v_cndmask_b32_e64 v7, v26, v9, s0
	v_add_co_u32 v26, s0, v22, s6
	v_lshrrev_b32_e32 v9, v20, v28
	v_add_co_ci_u32_e64 v27, s0, s7, v23, s0
	v_and_b32_e32 v31, 7, v7
	v_lshrrev_b32_e32 v7, 2, v7
	v_lshlrev_b32_e32 v20, v20, v9
	global_store_dword v[26:27], v5, off
	v_cvt_f64_f32_e32 v[22:23], v2
	v_cmp_lt_i32_e64 s0, 5, v31
	v_lshl_or_b32 v2, v16, 12, v11
	v_cmp_ne_u32_e64 s1, v20, v28
	v_cndmask_b32_e64 v5, 0, 1, s1
	v_cmp_eq_u32_e64 s1, 3, v31
	v_and_or_b32 v8, 0x1ff, v25, v24
	v_bfe_u32 v20, v25, 20, 11
	v_or_b32_e32 v5, v9, v5
	s_or_b32 s0, s1, s0
	v_add_co_ci_u32_e64 v9, s0, 0, v7, s0
	v_cmp_gt_i32_e64 s0, 1, v16
	v_lshrrev_b32_e32 v7, 8, v25
	v_sub_nc_u32_e32 v28, 0x3f1, v20
	v_cndmask_b32_e64 v9, 0x7c00, v9, s2
	v_mul_f64 v[22:23], v[22:23], s[4:5]
	v_cndmask_b32_e64 v2, v2, v5, s0
	v_cmp_ne_u32_e64 s0, 0, v8
	v_med3_i32 v28, v28, 0, 13
	v_and_b32_e32 v24, 7, v2
	v_cndmask_b32_e64 v5, 0, 1, s0
	v_cmp_ne_u32_e64 s0, 0, v14
	v_lshrrev_b32_e32 v2, 2, v2
	v_cmp_eq_u32_e64 s1, 3, v24
	v_and_or_b32 v5, 0xffe, v7, v5
	v_cndmask_b32_e64 v14, 0, 1, s0
	v_cmp_lt_i32_e64 s0, 5, v24
	ds_read2_b32 v[7:8], v85 offset0:116 offset1:176
	v_or_b32_e32 v24, 0x1000, v5
	v_lshl_or_b32 v14, v14, 9, 0x7c00
	s_or_b32 s0, s1, s0
	v_add_co_ci_u32_e64 v2, s0, 0, v2, s0
	v_cmp_eq_u32_e64 s0, 0x40f, v29
	v_lshrrev_b32_e32 v30, v28, v24
	v_and_or_b32 v22, 0x1ff, v23, v22
	v_bfe_u32 v31, v23, 20, 11
	v_cndmask_b32_e64 v9, v9, v14, s0
	v_cmp_gt_i32_e64 s0, 31, v16
	v_lshrrev_b32_e32 v14, 16, v21
	v_lshlrev_b32_e32 v21, v28, v30
	v_cndmask_b32_e64 v2, 0x7c00, v2, s0
	v_cmp_ne_u32_e64 s0, 0, v11
	s_waitcnt lgkmcnt(0)
	v_lshrrev_b32_e32 v28, 16, v7
	v_and_or_b32 v9, 0x8000, v14, v9
	v_cndmask_b32_e64 v11, 0, 1, s0
	v_cmp_ne_u32_e64 s0, v21, v24
	v_add_nc_u32_e32 v24, 0xfffffc10, v20
	v_mul_f16_sdwa v20, v135, v28 dst_sel:DWORD dst_unused:UNUSED_PAD src0_sel:WORD_1 src1_sel:DWORD
	v_and_b32_e32 v9, 0xffff, v9
	v_lshl_or_b32 v11, v11, 9, 0x7c00
	v_cndmask_b32_e64 v21, 0, 1, s0
	v_cmp_ne_u32_e64 s0, 0, v22
	v_fmac_f16_e32 v20, v135, v7
	v_lshl_or_b32 v29, v24, 12, v5
	v_mul_f16_sdwa v7, v135, v7 dst_sel:DWORD dst_unused:UNUSED_PAD src0_sel:WORD_1 src1_sel:DWORD
	v_or_b32_e32 v21, v30, v21
	v_cndmask_b32_e64 v22, 0, 1, s0
	v_lshrrev_b32_e32 v30, 8, v23
	v_cmp_gt_i32_e64 s0, 1, v24
	v_cvt_f32_f16_e32 v20, v20
	v_fma_f16 v7, v135, v28, -v7
	v_lshrrev_b32_e32 v23, 16, v23
	v_and_or_b32 v22, 0xffe, v30, v22
	v_sub_nc_u32_e32 v30, 0x3f1, v31
	v_cndmask_b32_e64 v29, v29, v21, s0
	v_cmp_eq_u32_e64 s0, 0x40f, v16
	v_cvt_f64_f32_e32 v[20:21], v20
	v_or_b32_e32 v16, 0x1000, v22
	v_med3_i32 v30, v30, 0, 13
	v_cvt_f32_f16_e32 v7, v7
	v_cndmask_b32_e64 v2, v2, v11, s0
	v_lshrrev_b32_e32 v11, 16, v12
	v_and_b32_e32 v12, 7, v29
	v_lshrrev_b32_e32 v14, v30, v16
	v_and_or_b32 v2, 0x8000, v11, v2
	v_cmp_lt_i32_e64 s0, 5, v12
	v_cmp_eq_u32_e64 s1, 3, v12
	v_lshrrev_b32_e32 v11, 2, v29
	v_lshlrev_b32_e32 v12, v30, v14
	v_add_nc_u32_e32 v29, 0xfffffc10, v31
	v_lshl_or_b32 v2, v2, 16, v9
	s_or_b32 s0, s1, s0
	v_lshrrev_b32_e32 v9, 16, v25
	v_add_co_ci_u32_e64 v28, s0, 0, v11, s0
	v_cmp_ne_u32_e64 s0, v12, v16
	v_mul_f64 v[20:21], v[20:21], s[4:5]
	v_cvt_f64_f32_e32 v[11:12], v7
	v_cndmask_b32_e64 v16, 0, 1, s0
	v_cmp_ne_u32_e64 s0, 0, v5
	v_or_b32_e32 v7, v14, v16
	v_cndmask_b32_e64 v5, 0, 1, s0
	v_cmp_gt_i32_e64 s0, 31, v24
	v_lshl_or_b32 v14, v29, 12, v22
	v_lshl_or_b32 v5, v5, 9, 0x7c00
	v_cndmask_b32_e64 v16, 0x7c00, v28, s0
	v_cmp_gt_i32_e64 s0, 1, v29
	v_cndmask_b32_e64 v7, v14, v7, s0
	v_cmp_eq_u32_e64 s0, 0x40f, v24
	v_and_b32_e32 v14, 7, v7
	v_cndmask_b32_e64 v5, v16, v5, s0
	v_add_co_u32 v24, s0, v26, s6
	v_add_co_ci_u32_e64 v25, s0, s7, v27, s0
	v_and_or_b32 v5, 0x8000, v9, v5
	v_and_or_b32 v9, 0x1ff, v21, v20
	v_mul_f64 v[26:27], v[11:12], s[4:5]
	v_cmp_lt_i32_e64 s0, 5, v14
	v_cmp_eq_u32_e64 s1, 3, v14
	v_lshrrev_b32_e32 v7, 2, v7
	v_cmp_ne_u32_e64 s2, 0, v9
	v_lshrrev_b32_e32 v11, 8, v21
	v_bfe_u32 v14, v21, 20, 11
	s_or_b32 s0, s1, s0
	v_lshrrev_b32_e32 v16, 16, v13
	v_cndmask_b32_e64 v9, 0, 1, s2
	v_add_co_ci_u32_e64 v7, s0, 0, v7, s0
	v_cmp_ne_u32_e64 s0, 0, v22
	v_mul_f16_sdwa v22, v134, v16 dst_sel:DWORD dst_unused:UNUSED_PAD src0_sel:WORD_1 src1_sel:DWORD
	v_and_or_b32 v9, 0xffe, v11, v9
	v_sub_nc_u32_e32 v11, 0x3f1, v14
	v_add_nc_u32_e32 v14, 0xfffffc10, v14
	v_cndmask_b32_e64 v12, 0, 1, s0
	v_cmp_gt_i32_e64 s0, 31, v29
	v_or_b32_e32 v20, 0x1000, v9
	v_med3_i32 v11, v11, 0, 13
	v_fmac_f16_e32 v22, v134, v13
	v_lshl_or_b32 v12, v12, 9, 0x7c00
	v_cndmask_b32_e64 v7, 0x7c00, v7, s0
	v_and_or_b32 v26, 0x1ff, v27, v26
	v_lshrrev_b32_e32 v28, v11, v20
	v_cmp_eq_u32_e64 s0, 0x40f, v29
	v_bfe_u32 v30, v27, 20, 11
	v_mul_f16_sdwa v13, v134, v13 dst_sel:DWORD dst_unused:UNUSED_PAD src0_sel:WORD_1 src1_sel:DWORD
	global_store_dword v[24:25], v2, off
	v_lshlrev_b32_e32 v29, v11, v28
	v_cndmask_b32_e64 v7, v7, v12, s0
	v_cvt_f32_f16_e32 v11, v22
	v_cmp_ne_u32_e64 s0, 0, v26
	v_lshrrev_b32_e32 v26, 8, v27
	v_fma_f16 v13, v134, v16, -v13
	v_and_or_b32 v7, 0x8000, v23, v7
	v_cvt_f64_f32_e32 v[11:12], v11
	v_cndmask_b32_e64 v22, 0, 1, s0
	v_cmp_ne_u32_e64 s0, v29, v20
	v_lshl_or_b32 v23, v14, 12, v9
	v_cvt_f32_f16_e32 v2, v13
	v_and_b32_e32 v5, 0xffff, v5
	v_and_or_b32 v26, 0xffe, v26, v22
	v_cndmask_b32_e64 v20, 0, 1, s0
	v_sub_nc_u32_e32 v22, 0x3f1, v30
	v_cmp_gt_i32_e64 s0, 1, v14
	v_lshl_or_b32 v5, v7, 16, v5
	v_or_b32_e32 v20, v28, v20
	v_or_b32_e32 v28, 0x1000, v26
	v_med3_i32 v22, v22, 0, 13
	v_cndmask_b32_e64 v16, v23, v20, s0
	v_add_co_u32 v24, s0, v24, s6
	v_lshrrev_b32_e32 v20, v22, v28
	v_add_co_ci_u32_e64 v25, s0, s7, v25, s0
	v_and_b32_e32 v7, 7, v16
	v_mul_f64 v[12:13], v[11:12], s[4:5]
	v_lshlrev_b32_e32 v29, v22, v20
	v_cvt_f64_f32_e32 v[22:23], v2
	v_lshrrev_b32_e32 v2, 2, v16
	v_cmp_lt_i32_e64 s0, 5, v7
	v_cmp_eq_u32_e64 s1, 3, v7
	v_cmp_ne_u32_e64 s2, v29, v28
	v_add_nc_u32_e32 v16, 0xfffffc10, v30
	global_store_dword v[24:25], v5, off
	s_or_b32 s0, s1, s0
	v_cndmask_b32_e64 v7, 0, 1, s2
	v_add_co_ci_u32_e64 v2, s0, 0, v2, s0
	v_cmp_gt_i32_e64 s0, 31, v14
	v_lshl_or_b32 v11, v16, 12, v26
	v_or_b32_e32 v7, v20, v7
	v_cmp_eq_u32_e64 s2, 0x40f, v14
	v_cndmask_b32_e64 v2, 0x7c00, v2, s0
	v_cmp_gt_i32_e64 s0, 1, v16
	v_lshrrev_b32_e32 v28, 8, v13
	v_bfe_u32 v29, v13, 20, 11
	v_mul_f64 v[22:23], v[22:23], s[4:5]
	v_cndmask_b32_e64 v5, v11, v7, s0
	v_and_or_b32 v7, 0x1ff, v13, v12
	v_cmp_ne_u32_e64 s0, 0, v9
	ds_read2_b32 v[11:12], v87 offset0:36 offset1:96
	v_and_b32_e32 v20, 7, v5
	v_lshrrev_b32_e32 v5, 2, v5
	v_cndmask_b32_e64 v9, 0, 1, s0
	v_cmp_ne_u32_e64 s0, 0, v7
	v_cmp_eq_u32_e64 s1, 3, v20
	v_lshl_or_b32 v9, v9, 9, 0x7c00
	v_cndmask_b32_e64 v7, 0, 1, s0
	v_cmp_lt_i32_e64 s0, 5, v20
	v_sub_nc_u32_e32 v20, 0x3f1, v29
	v_cndmask_b32_e64 v2, v2, v9, s2
	v_and_or_b32 v7, 0xffe, v28, v7
	s_or_b32 s0, s1, s0
	v_med3_i32 v14, v20, 0, 13
	v_add_co_ci_u32_e64 v5, s0, 0, v5, s0
	v_or_b32_e32 v9, 0x1000, v7
	v_lshrrev_b32_e32 v28, 16, v21
	v_and_or_b32 v21, 0x1ff, v23, v22
	v_cmp_gt_i32_e64 s0, 31, v16
	s_waitcnt lgkmcnt(0)
	v_lshrrev_b32_e32 v22, 16, v11
	v_lshrrev_b32_e32 v20, v14, v9
	;; [unrolled: 1-line block ×3, first 2 shown]
	v_bfe_u32 v32, v23, 20, 11
	v_cndmask_b32_e64 v5, 0x7c00, v5, s0
	v_cmp_ne_u32_e64 s0, 0, v21
	v_lshlrev_b32_e32 v14, v14, v20
	v_mul_f16_sdwa v31, v133, v22 dst_sel:DWORD dst_unused:UNUSED_PAD src0_sel:WORD_1 src1_sel:DWORD
	v_and_or_b32 v2, 0x8000, v28, v2
	v_add_nc_u32_e32 v28, 0xfffffc10, v32
	v_cndmask_b32_e64 v21, 0, 1, s0
	v_cmp_ne_u32_e64 s0, 0, v26
	v_fmac_f16_e32 v31, v133, v11
	v_mul_f16_sdwa v11, v133, v11 dst_sel:DWORD dst_unused:UNUSED_PAD src0_sel:WORD_1 src1_sel:DWORD
	v_cmp_gt_i32_e64 s2, 1, v28
	v_and_or_b32 v30, 0xffe, v30, v21
	v_cndmask_b32_e64 v26, 0, 1, s0
	v_cmp_ne_u32_e64 s0, v14, v9
	v_sub_nc_u32_e32 v21, 0x3f1, v32
	v_add_nc_u32_e32 v14, 0xfffffc10, v29
	v_cvt_f32_f16_e32 v29, v31
	v_or_b32_e32 v31, 0x1000, v30
	v_cndmask_b32_e64 v9, 0, 1, s0
	v_med3_i32 v33, v21, 0, 13
	v_lshl_or_b32 v26, v26, 9, 0x7c00
	v_cmp_eq_u32_e64 s0, 0x40f, v16
	v_lshrrev_b32_e32 v16, 16, v27
	v_or_b32_e32 v9, v20, v9
	v_cvt_f64_f32_e32 v[20:21], v29
	v_lshl_or_b32 v29, v14, 12, v7
	v_lshrrev_b32_e32 v34, v33, v31
	v_cndmask_b32_e64 v5, v5, v26, s0
	v_cmp_gt_i32_e64 s0, 1, v14
	v_fma_f16 v11, v133, v22, -v11
	v_lshl_or_b32 v22, v28, 12, v30
	v_lshlrev_b32_e32 v26, v33, v34
	v_and_or_b32 v5, 0x8000, v16, v5
	v_cndmask_b32_e64 v9, v29, v9, s0
	v_cvt_f32_f16_e32 v11, v11
	v_and_b32_e32 v2, 0xffff, v2
	v_cmp_ne_u32_e64 s0, v26, v31
	v_and_b32_e32 v16, 7, v9
	v_lshrrev_b32_e32 v9, 2, v9
	v_lshl_or_b32 v2, v5, 16, v2
	v_cndmask_b32_e64 v26, 0, 1, s0
	v_cmp_lt_i32_e64 s0, 5, v16
	v_cmp_eq_u32_e64 s1, 3, v16
	v_mul_f64 v[20:21], v[20:21], s[4:5]
	v_or_b32_e32 v16, v34, v26
	v_cvt_f64_f32_e32 v[26:27], v11
	s_or_b32 s0, s1, s0
	v_add_co_ci_u32_e64 v9, s0, 0, v9, s0
	v_cmp_ne_u32_e64 s0, 0, v7
	v_cndmask_b32_e64 v16, v22, v16, s2
	v_cmp_eq_u32_e64 s2, 0x40f, v14
	v_cndmask_b32_e64 v7, 0, 1, s0
	v_cmp_gt_i32_e64 s0, 31, v14
	v_and_b32_e32 v11, 7, v16
	v_lshl_or_b32 v7, v7, 9, 0x7c00
	v_cndmask_b32_e64 v9, 0x7c00, v9, s0
	v_cmp_lt_i32_e64 s0, 5, v11
	v_cmp_eq_u32_e64 s1, 3, v11
	v_and_or_b32 v11, 0x1ff, v21, v20
	v_cndmask_b32_e64 v5, v9, v7, s2
	v_lshrrev_b32_e32 v7, 2, v16
	s_or_b32 s0, s1, s0
	v_lshrrev_b32_e32 v9, 16, v13
	v_mul_f64 v[13:14], v[26:27], s[4:5]
	v_lshrrev_b32_e32 v16, 16, v10
	v_add_co_ci_u32_e64 v7, s0, 0, v7, s0
	v_cmp_ne_u32_e64 s0, 0, v11
	v_lshrrev_b32_e32 v20, 8, v21
	v_bfe_u32 v26, v21, 20, 11
	v_mul_f16_sdwa v22, v132, v16 dst_sel:DWORD dst_unused:UNUSED_PAD src0_sel:WORD_1 src1_sel:DWORD
	v_and_or_b32 v5, 0x8000, v9, v5
	v_cndmask_b32_e64 v11, 0, 1, s0
	v_cmp_ne_u32_e64 s0, 0, v30
	v_fmac_f16_e32 v22, v132, v10
	v_and_b32_e32 v5, 0xffff, v5
	v_and_or_b32 v11, 0xffe, v20, v11
	v_sub_nc_u32_e32 v20, 0x3f1, v26
	v_cndmask_b32_e64 v27, 0, 1, s0
	v_cmp_gt_i32_e64 s0, 31, v28
	v_cvt_f32_f16_e32 v22, v22
	v_or_b32_e32 v29, 0x1000, v11
	v_med3_i32 v20, v20, 0, 13
	v_lshl_or_b32 v27, v27, 9, 0x7c00
	v_cndmask_b32_e64 v7, 0x7c00, v7, s0
	v_cmp_eq_u32_e64 s0, 0x40f, v28
	v_and_or_b32 v13, 0x1ff, v14, v13
	v_lshrrev_b32_e32 v28, v20, v29
	v_bfe_u32 v30, v14, 20, 11
	v_mul_f16_sdwa v10, v132, v10 dst_sel:DWORD dst_unused:UNUSED_PAD src0_sel:WORD_1 src1_sel:DWORD
	v_cndmask_b32_e64 v7, v7, v27, s0
	v_add_co_u32 v24, s0, v24, s6
	v_lshrrev_b32_e32 v27, 16, v23
	v_cvt_f64_f32_e32 v[22:23], v22
	v_add_co_ci_u32_e64 v25, s0, s7, v25, s0
	v_lshlrev_b32_e32 v9, v20, v28
	v_cmp_ne_u32_e64 s0, 0, v13
	v_lshrrev_b32_e32 v20, 8, v14
	v_and_or_b32 v7, 0x8000, v27, v7
	global_store_dword v[24:25], v2, off
	v_fma_f16 v2, v132, v16, -v10
	v_cndmask_b32_e64 v13, 0, 1, s0
	v_cmp_ne_u32_e64 s0, v9, v29
	v_add_nc_u32_e32 v29, 0xfffffc10, v26
	v_lshl_or_b32 v5, v7, 16, v5
	v_cvt_f32_f16_e32 v2, v2
	v_and_or_b32 v13, 0xffe, v20, v13
	v_cndmask_b32_e64 v9, 0, 1, s0
	v_sub_nc_u32_e32 v20, 0x3f1, v30
	v_lshl_or_b32 v26, v29, 12, v11
	v_cmp_gt_i32_e64 s0, 1, v29
	v_add_nc_u32_e32 v16, 0xfffffc10, v30
	v_or_b32_e32 v9, v28, v9
	v_or_b32_e32 v28, 0x1000, v13
	v_med3_i32 v20, v20, 0, 13
	v_mul_f64 v[22:23], v[22:23], s[4:5]
	v_cmp_gt_i32_e64 s2, 31, v29
	v_cndmask_b32_e64 v7, v26, v9, s0
	v_add_co_u32 v26, s0, v24, s6
	v_lshrrev_b32_e32 v9, v20, v28
	v_add_co_ci_u32_e64 v27, s0, s7, v25, s0
	v_and_b32_e32 v31, 7, v7
	v_lshrrev_b32_e32 v7, 2, v7
	v_lshlrev_b32_e32 v20, v20, v9
	global_store_dword v[26:27], v5, off
	v_cvt_f64_f32_e32 v[24:25], v2
	v_cmp_lt_i32_e64 s0, 5, v31
	v_lshl_or_b32 v2, v16, 12, v13
	v_cmp_ne_u32_e64 s1, v20, v28
	v_cndmask_b32_e64 v5, 0, 1, s1
	v_cmp_eq_u32_e64 s1, 3, v31
	v_bfe_u32 v20, v23, 20, 11
	v_or_b32_e32 v5, v9, v5
	s_or_b32 s0, s1, s0
	v_and_or_b32 v9, 0x1ff, v23, v22
	v_add_co_ci_u32_e64 v7, s0, 0, v7, s0
	v_cmp_gt_i32_e64 s0, 1, v16
	v_sub_nc_u32_e32 v28, 0x3f1, v20
	v_cndmask_b32_e64 v7, 0x7c00, v7, s2
	v_mul_f64 v[24:25], v[24:25], s[4:5]
	v_cndmask_b32_e64 v2, v2, v5, s0
	v_cmp_ne_u32_e64 s0, 0, v9
	v_lshrrev_b32_e32 v9, 8, v23
	v_med3_i32 v28, v28, 0, 13
	v_and_b32_e32 v22, 7, v2
	v_cndmask_b32_e64 v5, 0, 1, s0
	v_cmp_ne_u32_e64 s0, 0, v11
	v_lshrrev_b32_e32 v2, 2, v2
	v_cmp_eq_u32_e64 s1, 3, v22
	v_and_or_b32 v5, 0xffe, v9, v5
	v_cndmask_b32_e64 v11, 0, 1, s0
	v_cmp_lt_i32_e64 s0, 5, v22
	ds_read2_b32 v[9:10], v86 offset0:84 offset1:144
	v_or_b32_e32 v22, 0x1000, v5
	v_lshl_or_b32 v11, v11, 9, 0x7c00
	s_or_b32 s0, s1, s0
	v_add_co_ci_u32_e64 v2, s0, 0, v2, s0
	v_cmp_eq_u32_e64 s0, 0x40f, v29
	v_lshrrev_b32_e32 v30, v28, v22
	v_and_or_b32 v24, 0x1ff, v25, v24
	v_bfe_u32 v31, v25, 20, 11
	v_cndmask_b32_e64 v7, v7, v11, s0
	v_cmp_gt_i32_e64 s0, 31, v16
	v_lshrrev_b32_e32 v11, 16, v21
	v_lshlrev_b32_e32 v21, v28, v30
	v_cndmask_b32_e64 v2, 0x7c00, v2, s0
	v_cmp_ne_u32_e64 s0, 0, v13
	s_waitcnt lgkmcnt(0)
	v_lshrrev_b32_e32 v28, 16, v9
	v_and_or_b32 v7, 0x8000, v11, v7
	v_cndmask_b32_e64 v13, 0, 1, s0
	v_cmp_ne_u32_e64 s0, v21, v22
	v_add_nc_u32_e32 v22, 0xfffffc10, v20
	v_mul_f16_sdwa v20, v131, v28 dst_sel:DWORD dst_unused:UNUSED_PAD src0_sel:WORD_1 src1_sel:DWORD
	v_and_b32_e32 v7, 0xffff, v7
	v_lshl_or_b32 v13, v13, 9, 0x7c00
	v_cndmask_b32_e64 v21, 0, 1, s0
	v_cmp_ne_u32_e64 s0, 0, v24
	v_fmac_f16_e32 v20, v131, v9
	v_lshl_or_b32 v29, v22, 12, v5
	v_mul_f16_sdwa v9, v131, v9 dst_sel:DWORD dst_unused:UNUSED_PAD src0_sel:WORD_1 src1_sel:DWORD
	v_or_b32_e32 v21, v30, v21
	v_cndmask_b32_e64 v24, 0, 1, s0
	v_lshrrev_b32_e32 v30, 8, v25
	v_cmp_gt_i32_e64 s0, 1, v22
	v_cvt_f32_f16_e32 v20, v20
	v_fma_f16 v9, v131, v28, -v9
	v_and_or_b32 v24, 0xffe, v30, v24
	v_sub_nc_u32_e32 v30, 0x3f1, v31
	v_cndmask_b32_e64 v29, v29, v21, s0
	v_cmp_eq_u32_e64 s0, 0x40f, v16
	v_cvt_f64_f32_e32 v[20:21], v20
	v_or_b32_e32 v16, 0x1000, v24
	v_med3_i32 v30, v30, 0, 13
	v_cvt_f32_f16_e32 v9, v9
	v_cndmask_b32_e64 v2, v2, v13, s0
	v_lshrrev_b32_e32 v13, 16, v14
	v_and_b32_e32 v14, 7, v29
	v_lshrrev_b32_e32 v11, v30, v16
	v_and_or_b32 v2, 0x8000, v13, v2
	v_cmp_lt_i32_e64 s0, 5, v14
	v_cmp_eq_u32_e64 s1, 3, v14
	v_lshrrev_b32_e32 v13, 2, v29
	v_lshlrev_b32_e32 v14, v30, v11
	v_add_nc_u32_e32 v29, 0xfffffc10, v31
	v_lshl_or_b32 v2, v2, 16, v7
	s_or_b32 s0, s1, s0
	v_lshrrev_b32_e32 v7, 16, v23
	v_add_co_ci_u32_e64 v28, s0, 0, v13, s0
	v_cmp_ne_u32_e64 s0, v14, v16
	v_mul_f64 v[13:14], v[20:21], s[4:5]
	v_cvt_f64_f32_e32 v[20:21], v9
	v_cndmask_b32_e64 v16, 0, 1, s0
	v_cmp_ne_u32_e64 s0, 0, v5
	v_or_b32_e32 v9, v11, v16
	v_cndmask_b32_e64 v5, 0, 1, s0
	v_cmp_gt_i32_e64 s0, 31, v22
	v_lshl_or_b32 v11, v29, 12, v24
	v_lshl_or_b32 v5, v5, 9, 0x7c00
	v_cndmask_b32_e64 v16, 0x7c00, v28, s0
	v_cmp_gt_i32_e64 s0, 1, v29
	v_cndmask_b32_e64 v9, v11, v9, s0
	v_cmp_eq_u32_e64 s0, 0x40f, v22
	v_mul_f64 v[20:21], v[20:21], s[4:5]
	v_and_b32_e32 v11, 7, v9
	v_cndmask_b32_e64 v5, v16, v5, s0
	v_add_co_u32 v22, s0, v26, s6
	v_add_co_ci_u32_e64 v23, s0, s7, v27, s0
	v_and_or_b32 v5, 0x8000, v7, v5
	v_and_or_b32 v7, 0x1ff, v14, v13
	v_cmp_lt_i32_e64 s0, 5, v11
	v_cmp_eq_u32_e64 s1, 3, v11
	v_lshrrev_b32_e32 v9, 2, v9
	v_lshrrev_b32_e32 v11, 8, v14
	v_cmp_ne_u32_e64 s2, 0, v7
	v_bfe_u32 v13, v14, 20, 11
	s_or_b32 s0, s1, s0
	v_lshrrev_b32_e32 v16, 16, v6
	v_add_co_ci_u32_e64 v9, s0, 0, v9, s0
	v_cndmask_b32_e64 v7, 0, 1, s2
	v_cmp_ne_u32_e64 s0, 0, v24
	v_mul_f16_sdwa v26, v130, v16 dst_sel:DWORD dst_unused:UNUSED_PAD src0_sel:WORD_1 src1_sel:DWORD
	v_and_or_b32 v20, 0x1ff, v21, v20
	v_bfe_u32 v31, v21, 20, 11
	v_and_or_b32 v7, 0xffe, v11, v7
	v_sub_nc_u32_e32 v11, 0x3f1, v13
	v_cndmask_b32_e64 v24, 0, 1, s0
	v_cmp_gt_i32_e64 s0, 31, v29
	v_fmac_f16_e32 v26, v130, v6
	v_or_b32_e32 v28, 0x1000, v7
	v_med3_i32 v11, v11, 0, 13
	v_lshl_or_b32 v24, v24, 9, 0x7c00
	v_cndmask_b32_e64 v9, 0x7c00, v9, s0
	v_cmp_eq_u32_e64 s0, 0x40f, v29
	v_lshrrev_b32_e32 v29, 8, v21
	v_lshrrev_b32_e32 v30, v11, v28
	v_add_nc_u32_e32 v13, 0xfffffc10, v13
	v_mul_f16_sdwa v6, v130, v6 dst_sel:DWORD dst_unused:UNUSED_PAD src0_sel:WORD_1 src1_sel:DWORD
	v_cndmask_b32_e64 v9, v9, v24, s0
	v_cvt_f32_f16_e32 v24, v26
	v_lshlrev_b32_e32 v11, v11, v30
	v_cmp_ne_u32_e64 s0, 0, v20
	v_and_b32_e32 v5, 0xffff, v5
	global_store_dword v[22:23], v2, off
	v_cvt_f64_f32_e32 v[26:27], v24
	v_lshrrev_b32_e32 v24, 16, v25
	v_cndmask_b32_e64 v20, 0, 1, s0
	v_cmp_ne_u32_e64 s0, v11, v28
	v_sub_nc_u32_e32 v25, 0x3f1, v31
	v_lshl_or_b32 v28, v13, 12, v7
	v_and_or_b32 v9, 0x8000, v24, v9
	v_and_or_b32 v20, 0xffe, v29, v20
	v_cndmask_b32_e64 v11, 0, 1, s0
	v_cmp_gt_i32_e64 s0, 1, v13
	v_med3_i32 v25, v25, 0, 13
	v_fma_f16 v16, v130, v16, -v6
	v_or_b32_e32 v24, 0x1000, v20
	v_or_b32_e32 v11, v30, v11
	v_lshl_or_b32 v9, v9, 16, v5
	v_lshrrev_b32_e32 v29, 16, v14
	v_cvt_f32_f16_e32 v16, v16
	v_cndmask_b32_e64 v11, v28, v11, s0
	v_lshrrev_b32_e32 v28, v25, v24
	v_mul_f64 v[5:6], v[26:27], s[4:5]
	v_and_b32_e32 v2, 7, v11
	v_lshlrev_b32_e32 v25, v25, v28
	v_lshrrev_b32_e32 v11, 2, v11
	v_add_nc_u32_e32 v26, 0xfffffc10, v31
	v_cmp_lt_i32_e64 s0, 5, v2
	v_cmp_eq_u32_e64 s1, 3, v2
	v_cmp_ne_u32_e64 s2, v25, v24
	v_cvt_f64_f32_e32 v[24:25], v16
	v_lshl_or_b32 v16, v26, 12, v20
	s_or_b32 s0, s1, s0
	v_cndmask_b32_e64 v2, 0, 1, s2
	v_add_co_ci_u32_e64 v11, s0, 0, v11, s0
	v_cmp_ne_u32_e64 s0, 0, v7
	v_add_co_u32 v22, s2, v22, s6
	v_or_b32_e32 v2, v28, v2
	v_add_co_ci_u32_e64 v23, s2, s7, v23, s2
	v_cndmask_b32_e64 v7, 0, 1, s0
	v_cmp_gt_i32_e64 s0, 1, v26
	v_and_or_b32 v5, 0x1ff, v6, v5
	v_lshrrev_b32_e32 v27, 8, v6
	v_bfe_u32 v28, v6, 20, 11
	v_lshl_or_b32 v7, v7, 9, 0x7c00
	v_cndmask_b32_e64 v2, v16, v2, s0
	v_cmp_gt_i32_e64 s0, 31, v13
	global_store_dword v[22:23], v9, off
	v_mul_f64 v[24:25], v[24:25], s[4:5]
	v_and_b32_e32 v16, 7, v2
	v_cndmask_b32_e64 v11, 0x7c00, v11, s0
	v_cmp_ne_u32_e64 s0, 0, v5
	v_lshrrev_b32_e32 v2, 2, v2
	v_cmp_eq_u32_e64 s1, 3, v16
	v_cndmask_b32_e64 v5, 0, 1, s0
	v_cmp_eq_u32_e64 s0, 0x40f, v13
	v_and_or_b32 v5, 0xffe, v27, v5
	v_cndmask_b32_e64 v7, v11, v7, s0
	v_sub_nc_u32_e32 v11, 0x3f1, v28
	v_cmp_lt_i32_e64 s0, 5, v16
	v_lshrrev_b32_e32 v16, 16, v15
	v_or_b32_e32 v13, 0x1000, v5
	v_add_nc_u32_e32 v28, 0xfffffc10, v28
	v_med3_i32 v11, v11, 0, 13
	s_or_b32 s0, s1, s0
	v_mul_f16_sdwa v14, v129, v16 dst_sel:DWORD dst_unused:UNUSED_PAD src0_sel:WORD_1 src1_sel:DWORD
	v_add_co_ci_u32_e64 v2, s0, 0, v2, s0
	v_lshrrev_b32_e32 v27, v11, v13
	v_cmp_gt_i32_e64 s0, 31, v26
	v_and_or_b32 v24, 0x1ff, v25, v24
	v_fmac_f16_e32 v14, v129, v15
	v_lshrrev_b32_e32 v30, 8, v25
	v_lshlrev_b32_e32 v11, v11, v27
	v_cndmask_b32_e64 v2, 0x7c00, v2, s0
	v_cmp_ne_u32_e64 s0, 0, v20
	v_bfe_u32 v31, v25, 20, 11
	v_mul_f16_sdwa v15, v129, v15 dst_sel:DWORD dst_unused:UNUSED_PAD src0_sel:WORD_1 src1_sel:DWORD
	v_and_or_b32 v7, 0x8000, v29, v7
	v_lshrrev_b32_e32 v25, 16, v25
	v_cndmask_b32_e64 v20, 0, 1, s0
	v_cmp_ne_u32_e64 s0, v11, v13
	v_cvt_f32_f16_e32 v13, v14
	v_fma_f16 v15, v129, v16, -v15
	v_and_b32_e32 v7, 0xffff, v7
	v_lshl_or_b32 v20, v20, 9, 0x7c00
	v_cndmask_b32_e64 v11, 0, 1, s0
	v_cmp_ne_u32_e64 s0, 0, v24
	v_cvt_f64_f32_e32 v[13:14], v13
	v_cvt_f32_f16_e32 v15, v15
	v_or_b32_e32 v11, v27, v11
	v_cndmask_b32_e64 v24, 0, 1, s0
	v_lshl_or_b32 v27, v28, 12, v5
	v_cmp_gt_i32_e64 s0, 1, v28
	v_and_or_b32 v24, 0xffe, v30, v24
	v_sub_nc_u32_e32 v30, 0x3f1, v31
	v_cndmask_b32_e64 v11, v27, v11, s0
	v_cmp_eq_u32_e64 s0, 0x40f, v26
	v_or_b32_e32 v27, 0x1000, v24
	v_med3_i32 v30, v30, 0, 13
	v_cndmask_b32_e64 v2, v2, v20, s0
	v_lshrrev_b32_e32 v20, 16, v21
	v_and_b32_e32 v21, 7, v11
	v_lshrrev_b32_e32 v26, v30, v27
	v_lshrrev_b32_e32 v11, 2, v11
	v_mul_f64 v[13:14], v[13:14], s[4:5]
	v_and_or_b32 v2, 0x8000, v20, v2
	v_cmp_lt_i32_e64 s0, 5, v21
	v_lshlrev_b32_e32 v9, v30, v26
	v_cmp_eq_u32_e64 s1, 3, v21
	v_add_nc_u32_e32 v20, 0xfffffc10, v31
	v_lshl_or_b32 v7, v2, 16, v7
	v_cmp_ne_u32_e64 s2, v9, v27
	s_or_b32 s0, s1, s0
	v_lshl_or_b32 v16, v20, 12, v24
	v_add_co_ci_u32_e64 v11, s0, 0, v11, s0
	v_cndmask_b32_e64 v9, 0, 1, s2
	v_cmp_ne_u32_e64 s0, 0, v5
	v_or_b32_e32 v9, v26, v9
	v_cndmask_b32_e64 v5, 0, 1, s0
	v_cmp_gt_i32_e64 s0, 1, v20
	v_lshrrev_b32_e32 v26, 16, v3
	v_and_or_b32 v2, 0x1ff, v14, v13
	v_bfe_u32 v13, v14, 20, 11
	v_lshl_or_b32 v5, v5, 9, 0x7c00
	v_cndmask_b32_e64 v9, v16, v9, s0
	v_cvt_f64_f32_e32 v[15:16], v15
	v_cmp_gt_i32_e64 s0, 31, v28
	v_cmp_ne_u32_e64 s2, 0, v2
	v_and_b32_e32 v21, 7, v9
	v_cndmask_b32_e64 v11, 0x7c00, v11, s0
	v_cmp_eq_u32_e64 s0, 0x40f, v28
	v_cndmask_b32_e64 v2, 0, 1, s2
	v_cmp_eq_u32_e64 s1, 3, v21
	v_lshrrev_b32_e32 v28, 16, v6
	v_cndmask_b32_e64 v11, v11, v5, s0
	v_cmp_lt_i32_e64 s0, 5, v21
	v_lshrrev_b32_e32 v5, 2, v9
	v_lshrrev_b32_e32 v9, 8, v14
	v_mul_f16_sdwa v21, v128, v26 dst_sel:DWORD dst_unused:UNUSED_PAD src0_sel:WORD_1 src1_sel:DWORD
	v_and_or_b32 v11, 0x8000, v28, v11
	s_or_b32 s0, s1, s0
	v_and_or_b32 v9, 0xffe, v9, v2
	v_sub_nc_u32_e32 v2, 0x3f1, v13
	v_mul_f64 v[15:16], v[15:16], s[4:5]
	v_add_co_ci_u32_e64 v5, s0, 0, v5, s0
	v_cmp_ne_u32_e64 s0, 0, v24
	v_or_b32_e32 v27, 0x1000, v9
	v_med3_i32 v2, v2, 0, 13
	v_fmac_f16_e32 v21, v128, v3
	v_add_nc_u32_e32 v13, 0xfffffc10, v13
	v_cndmask_b32_e64 v24, 0, 1, s0
	v_cmp_gt_i32_e64 s0, 31, v20
	v_lshrrev_b32_e32 v29, v2, v27
	v_cvt_f32_f16_e32 v6, v21
	v_and_b32_e32 v11, 0xffff, v11
	v_lshl_or_b32 v24, v24, 9, 0x7c00
	v_cndmask_b32_e64 v5, 0x7c00, v5, s0
	v_cmp_eq_u32_e64 s0, 0x40f, v20
	v_lshlrev_b32_e32 v2, v2, v29
	v_cndmask_b32_e64 v24, v5, v24, s0
	v_add_co_u32 v20, s0, v22, s6
	v_add_co_ci_u32_e64 v21, s0, s7, v23, s0
	v_and_or_b32 v15, 0x1ff, v16, v15
	v_cmp_ne_u32_e64 s0, v2, v27
	v_cvt_f64_f32_e32 v[5:6], v6
	v_and_or_b32 v22, 0x8000, v25, v24
	v_lshrrev_b32_e32 v23, 8, v16
	v_bfe_u32 v24, v16, 20, 11
	v_cndmask_b32_e64 v2, 0, 1, s0
	v_cmp_ne_u32_e64 s0, 0, v15
	v_lshl_or_b32 v25, v13, 12, v9
	v_lshl_or_b32 v11, v22, 16, v11
	v_mul_f16_sdwa v27, v128, v3 dst_sel:DWORD dst_unused:UNUSED_PAD src0_sel:WORD_1 src1_sel:DWORD
	v_or_b32_e32 v2, v29, v2
	v_cndmask_b32_e64 v15, 0, 1, s0
	v_cmp_gt_i32_e64 s0, 1, v13
	v_lshrrev_b32_e32 v16, 16, v16
	v_fma_f16 v26, v128, v26, -v27
	v_and_or_b32 v15, 0xffe, v23, v15
	v_sub_nc_u32_e32 v23, 0x3f1, v24
	v_cndmask_b32_e64 v22, v25, v2, s0
	v_add_co_u32 v2, s0, v20, s10
	v_or_b32_e32 v25, 0x1000, v15
	v_med3_i32 v23, v23, 0, 13
	v_mul_f64 v[5:6], v[5:6], s[4:5]
	v_add_co_ci_u32_e64 v3, s0, s11, v21, s0
	v_and_b32_e32 v28, 7, v22
	v_lshrrev_b32_e32 v27, v23, v25
	global_store_dword v[20:21], v7, off
	global_store_dword v[2:3], v11, off
	v_cvt_f32_f16_e32 v7, v26
	v_lshrrev_b32_e32 v22, 2, v22
	v_cmp_lt_i32_e64 s0, 5, v28
	v_lshlrev_b32_e32 v11, v23, v27
	v_cmp_eq_u32_e64 s1, 3, v28
	v_cvt_f64_f32_e32 v[20:21], v7
	v_cmp_ne_u32_e64 s2, v11, v25
	s_or_b32 s0, s1, s0
	v_add_nc_u32_e32 v11, 0xfffffc10, v24
	v_add_co_ci_u32_e64 v22, s0, 0, v22, s0
	v_cndmask_b32_e64 v7, 0, 1, s2
	v_cmp_gt_i32_e64 s0, 31, v13
	v_lshl_or_b32 v23, v11, 12, v15
	v_and_or_b32 v5, 0x1ff, v6, v5
	v_bfe_u32 v24, v6, 20, 11
	v_or_b32_e32 v7, v27, v7
	v_cndmask_b32_e64 v22, 0x7c00, v22, s0
	v_cmp_gt_i32_e64 s0, 1, v11
	v_cmp_eq_u32_e64 s2, 0x40f, v13
	v_cndmask_b32_e64 v7, v23, v7, s0
	v_cmp_ne_u32_e64 s0, 0, v5
	v_lshrrev_b32_e32 v23, 8, v6
	v_mul_f64 v[20:21], v[20:21], s[4:5]
	v_and_b32_e32 v25, 7, v7
	v_cndmask_b32_e64 v5, 0, 1, s0
	v_cmp_ne_u32_e64 s0, 0, v9
	v_lshrrev_b32_e32 v7, 2, v7
	v_cmp_eq_u32_e64 s1, 3, v25
	v_and_or_b32 v5, 0xffe, v23, v5
	v_sub_nc_u32_e32 v23, 0x3f1, v24
	v_cndmask_b32_e64 v9, 0, 1, s0
	v_cmp_lt_i32_e64 s0, 5, v25
	v_add_nc_u32_e32 v24, 0xfffffc10, v24
	v_or_b32_e32 v25, 0x1000, v5
	v_med3_i32 v23, v23, 0, 13
	v_lshl_or_b32 v9, v9, 9, 0x7c00
	s_or_b32 s0, s1, s0
	v_lshl_or_b32 v28, v24, 12, v5
	v_add_co_ci_u32_e64 v7, s0, 0, v7, s0
	v_lshrrev_b32_e32 v13, v23, v25
	v_cmp_ne_u32_e64 s0, 0, v15
	v_cndmask_b32_e64 v9, v22, v9, s2
	v_lshrrev_b32_e32 v22, 16, v14
	v_lshrrev_b32_e32 v15, 16, v17
	v_lshlrev_b32_e32 v23, v23, v13
	v_cndmask_b32_e64 v14, 0, 1, s0
	v_cmp_gt_i32_e64 s0, 31, v11
	v_and_or_b32 v20, 0x1ff, v21, v20
	v_bfe_u32 v27, v21, 20, 11
	v_and_or_b32 v9, 0x8000, v22, v9
	v_lshl_or_b32 v26, v14, 9, 0x7c00
	v_cndmask_b32_e64 v7, 0x7c00, v7, s0
	v_cmp_ne_u32_e64 s0, v23, v25
	v_mul_f16_sdwa v14, v127, v15 dst_sel:DWORD dst_unused:UNUSED_PAD src0_sel:WORD_1 src1_sel:DWORD
	v_lshrrev_b32_e32 v25, 8, v21
	v_and_b32_e32 v9, 0xffff, v9
	v_cndmask_b32_e64 v23, 0, 1, s0
	v_cmp_ne_u32_e64 s0, 0, v20
	v_fmac_f16_e32 v14, v127, v17
	v_mul_f16_sdwa v17, v127, v17 dst_sel:DWORD dst_unused:UNUSED_PAD src0_sel:WORD_1 src1_sel:DWORD
	v_or_b32_e32 v23, v13, v23
	v_cndmask_b32_e64 v20, 0, 1, s0
	v_cmp_eq_u32_e64 s0, 0x40f, v11
	v_cvt_f32_f16_e32 v14, v14
	v_fma_f16 v15, v127, v15, -v17
	v_and_or_b32 v20, 0xffe, v25, v20
	v_cndmask_b32_e64 v7, v7, v26, s0
	v_cmp_gt_i32_e64 s0, 1, v24
	v_cvt_f64_f32_e32 v[13:14], v14
	v_sub_nc_u32_e32 v25, 0x3f1, v27
	v_or_b32_e32 v11, 0x1000, v20
	v_and_or_b32 v7, 0x8000, v16, v7
	v_cndmask_b32_e64 v23, v28, v23, s0
	v_cvt_f32_f16_e32 v15, v15
	v_med3_i32 v25, v25, 0, 13
	v_lshl_or_b32 v7, v7, 16, v9
	v_and_b32_e32 v26, 7, v23
	v_lshrrev_b32_e32 v17, 2, v23
	v_lshrrev_b32_e32 v22, v25, v11
	v_add_nc_u32_e32 v23, 0xfffffc10, v27
	v_cmp_lt_i32_e64 s0, 5, v26
	v_cmp_eq_u32_e64 s1, 3, v26
	v_lshlrev_b32_e32 v16, v25, v22
	s_or_b32 s0, s1, s0
	v_cmp_ne_u32_e64 s2, v16, v11
	v_add_co_ci_u32_e64 v17, s0, 0, v17, s0
	v_cvt_f64_f32_e32 v[15:16], v15
	v_cmp_ne_u32_e64 s0, 0, v5
	v_mul_f64 v[13:14], v[13:14], s[4:5]
	v_cndmask_b32_e64 v11, 0, 1, s2
	v_cndmask_b32_e64 v5, 0, 1, s0
	v_cmp_gt_i32_e64 s0, 31, v24
	v_or_b32_e32 v11, v22, v11
	v_lshl_or_b32 v22, v23, 12, v20
	v_lshl_or_b32 v5, v5, 9, 0x7c00
	v_cndmask_b32_e64 v17, 0x7c00, v17, s0
	v_cmp_gt_i32_e64 s0, 1, v23
	v_cndmask_b32_e64 v11, v22, v11, s0
	v_cmp_eq_u32_e64 s0, 0x40f, v24
	v_and_b32_e32 v22, 7, v11
	v_cndmask_b32_e64 v9, v17, v5, s0
	v_lshrrev_b32_e32 v17, 16, v6
	v_add_co_u32 v2, s0, v2, s6
	v_mul_f64 v[5:6], v[15:16], s[4:5]
	v_and_or_b32 v13, 0x1ff, v14, v13
	v_add_co_ci_u32_e64 v3, s0, s7, v3, s0
	v_cmp_lt_i32_e64 s0, 5, v22
	v_cmp_eq_u32_e64 s1, 3, v22
	v_lshrrev_b32_e32 v11, 2, v11
	v_cmp_ne_u32_e64 s2, 0, v13
	v_lshrrev_b32_e32 v15, 8, v14
	v_bfe_u32 v16, v14, 20, 11
	s_or_b32 s0, s1, s0
	v_and_or_b32 v9, 0x8000, v17, v9
	v_add_co_ci_u32_e64 v11, s0, 0, v11, s0
	v_cndmask_b32_e64 v13, 0, 1, s2
	v_cmp_ne_u32_e64 s0, 0, v20
	v_and_b32_e32 v9, 0xffff, v9
	global_store_dword v[2:3], v7, off
	v_and_or_b32 v13, 0xffe, v15, v13
	v_cndmask_b32_e64 v17, 0, 1, s0
	v_sub_nc_u32_e32 v15, 0x3f1, v16
	v_cmp_gt_i32_e64 s0, 31, v23
	v_and_or_b32 v5, 0x1ff, v6, v5
	v_or_b32_e32 v20, 0x1000, v13
	v_lshl_or_b32 v17, v17, 9, 0x7c00
	v_med3_i32 v15, v15, 0, 13
	v_cndmask_b32_e64 v11, 0x7c00, v11, s0
	v_cmp_eq_u32_e64 s0, 0x40f, v23
	v_lshrrev_b32_e32 v23, 8, v6
	v_bfe_u32 v25, v6, 20, 11
	v_lshrrev_b32_e32 v22, v15, v20
	v_lshrrev_b32_e32 v6, 16, v6
	v_cndmask_b32_e64 v11, v11, v17, s0
	v_lshrrev_b32_e32 v17, 16, v21
	v_lshrrev_b32_e32 v21, 16, v0
	v_cmp_ne_u32_e64 s0, 0, v5
	v_lshlrev_b32_e32 v15, v15, v22
	v_and_or_b32 v11, 0x8000, v17, v11
	v_mul_f16_sdwa v24, v126, v21 dst_sel:DWORD dst_unused:UNUSED_PAD src0_sel:WORD_1 src1_sel:DWORD
	v_cndmask_b32_e64 v5, 0, 1, s0
	v_cmp_ne_u32_e64 s0, v15, v20
	v_sub_nc_u32_e32 v17, 0x3f1, v25
	v_lshl_or_b32 v7, v11, 16, v9
	v_fmac_f16_e32 v24, v126, v0
	v_and_or_b32 v5, 0xffe, v23, v5
	v_cndmask_b32_e64 v15, 0, 1, s0
	v_add_nc_u32_e32 v23, 0xfffffc10, v16
	v_med3_i32 v17, v17, 0, 13
	v_cvt_f32_f16_e32 v16, v24
	v_or_b32_e32 v20, 0x1000, v5
	v_or_b32_e32 v22, v22, v15
	v_lshl_or_b32 v24, v23, 12, v13
	v_cmp_gt_i32_e64 s0, 1, v23
	v_cvt_f64_f32_e32 v[15:16], v16
	v_lshrrev_b32_e32 v26, v17, v20
	v_mul_f16_sdwa v0, v126, v0 dst_sel:DWORD dst_unused:UNUSED_PAD src0_sel:WORD_1 src1_sel:DWORD
	v_cndmask_b32_e64 v9, v24, v22, s0
	v_add_co_u32 v2, s0, v2, s6
	v_lshlrev_b32_e32 v11, v17, v26
	v_add_co_ci_u32_e64 v3, s0, s7, v3, s0
	v_and_b32_e32 v17, 7, v9
	v_add_nc_u32_e32 v22, 0xfffffc10, v25
	v_cmp_ne_u32_e64 s0, v11, v20
	v_lshrrev_b32_e32 v9, 2, v9
	v_fma_f16 v0, v126, v21, -v0
	v_cmp_eq_u32_e64 s1, 3, v17
	v_cmp_gt_i32_e64 s2, 1, v22
	v_cndmask_b32_e64 v11, 0, 1, s0
	v_cmp_lt_i32_e64 s0, 5, v17
	v_lshl_or_b32 v17, v22, 12, v5
	v_cvt_f32_f16_e32 v0, v0
	global_store_dword v[2:3], v7, off
	v_or_b32_e32 v11, v26, v11
	v_mul_f64 v[15:16], v[15:16], s[4:5]
	s_or_b32 s0, s1, s0
	v_cvt_f64_f32_e32 v[20:21], v0
	v_add_co_ci_u32_e64 v9, s0, 0, v9, s0
	v_cndmask_b32_e64 v11, v17, v11, s2
	v_cmp_ne_u32_e64 s0, 0, v13
	v_cmp_eq_u32_e64 s2, 0x40f, v23
	v_mad_u64_u32 v[2:3], null, 0x6c0, s8, v[2:3]
	v_and_b32_e32 v17, 7, v11
	v_cndmask_b32_e64 v13, 0, 1, s0
	v_cmp_gt_i32_e64 s0, 31, v23
	v_lshrrev_b32_e32 v7, 2, v11
	v_cmp_eq_u32_e64 s1, 3, v17
	v_add_nc_u32_e32 v3, s3, v3
	v_cndmask_b32_e64 v0, 0x7c00, v9, s0
	v_cmp_lt_i32_e64 s0, 5, v17
	v_lshl_or_b32 v9, v13, 9, 0x7c00
	v_and_or_b32 v11, 0x1ff, v16, v15
	s_or_b32 s0, s1, s0
	v_lshrrev_b32_e32 v15, 8, v16
	v_add_co_ci_u32_e64 v7, s0, 0, v7, s0
	v_cmp_ne_u32_e64 s0, 0, v5
	v_bfe_u32 v17, v16, 20, 11
	v_cndmask_b32_e64 v0, v0, v9, s2
	v_lshrrev_b32_e32 v9, 16, v14
	v_mul_f64 v[13:14], v[20:21], s[4:5]
	v_cndmask_b32_e64 v5, 0, 1, s0
	v_cmp_ne_u32_e64 s0, 0, v11
	v_sub_nc_u32_e32 v23, 0x3f1, v17
	v_mad_u64_u32 v[20:21], null, s8, v124, 0
	v_lshl_or_b32 v5, v5, 9, 0x7c00
	v_cndmask_b32_e64 v11, 0, 1, s0
	v_cmp_gt_i32_e64 s0, 31, v22
	v_med3_i32 v23, v23, 0, 13
	v_and_or_b32 v9, 0x8000, v9, v0
	v_and_or_b32 v11, 0xffe, v15, v11
	v_lshrrev_b32_e32 v15, 16, v8
	v_cndmask_b32_e64 v7, 0x7c00, v7, s0
	v_cmp_eq_u32_e64 s0, 0x40f, v22
	v_mov_b32_e32 v0, v21
	v_or_b32_e32 v24, 0x1000, v11
	v_mul_f16_sdwa v25, v125, v15 dst_sel:DWORD dst_unused:UNUSED_PAD src0_sel:WORD_1 src1_sel:DWORD
	v_and_b32_e32 v9, 0xffff, v9
	v_cndmask_b32_e64 v5, v7, v5, s0
	v_lshrrev_b32_e32 v22, v23, v24
	v_fmac_f16_e32 v25, v125, v8
	v_mul_f16_sdwa v8, v125, v8 dst_sel:DWORD dst_unused:UNUSED_PAD src0_sel:WORD_1 src1_sel:DWORD
	v_and_or_b32 v26, 0x8000, v6, v5
	v_mad_u64_u32 v[5:6], null, s9, v124, v[0:1]
	v_lshlrev_b32_e32 v21, v23, v22
	v_and_or_b32 v0, 0x1ff, v14, v13
	v_cvt_f32_f16_e32 v7, v25
	v_add_nc_u32_e32 v23, 0xfffffc10, v17
	v_lshrrev_b32_e32 v17, 8, v14
	v_cmp_ne_u32_e64 s0, v21, v24
	v_bfe_u32 v24, v14, 20, 11
	v_cvt_f64_f32_e32 v[6:7], v7
	v_mov_b32_e32 v21, v5
	v_lshl_or_b32 v9, v26, 16, v9
	v_cndmask_b32_e64 v13, 0, 1, s0
	v_cmp_ne_u32_e64 s0, 0, v0
	v_fma_f16 v8, v125, v15, -v8
	v_lshlrev_b64 v[20:21], 2, v[20:21]
	v_add_nc_u32_e32 v15, 0xfffffc10, v24
	v_or_b32_e32 v5, v22, v13
	v_cndmask_b32_e64 v0, 0, 1, s0
	v_lshl_or_b32 v13, v23, 12, v11
	v_cmp_gt_i32_e64 s0, 1, v23
	v_cvt_f32_f16_e32 v8, v8
	v_and_or_b32 v0, 0xffe, v17, v0
	v_sub_nc_u32_e32 v17, 0x3f1, v24
	v_cndmask_b32_e64 v13, v13, v5, s0
	v_or_b32_e32 v22, 0x1000, v0
	v_med3_i32 v25, v17, 0, 13
	v_and_b32_e32 v26, 7, v13
	v_mul_f64 v[5:6], v[6:7], s[4:5]
	v_add_co_u32 v17, s0, v18, v20
	v_lshrrev_b32_e32 v27, v25, v22
	v_add_co_ci_u32_e64 v18, s0, v19, v21, s0
	v_cmp_lt_i32_e64 s0, 5, v26
	v_cmp_eq_u32_e64 s1, 3, v26
	v_lshlrev_b32_e32 v7, v25, v27
	v_lshrrev_b32_e32 v13, 2, v13
	v_lshl_or_b32 v20, v15, 12, v0
	global_store_dword v[17:18], v9, off
	s_or_b32 s0, s1, s0
	v_cmp_ne_u32_e64 s2, v7, v22
	v_add_co_ci_u32_e64 v13, s0, 0, v13, s0
	v_cmp_ne_u32_e64 s0, 0, v11
	v_cndmask_b32_e64 v7, 0, 1, s2
	v_cndmask_b32_e64 v11, 0, 1, s0
	v_cmp_gt_i32_e64 s0, 1, v15
	v_or_b32_e32 v19, v27, v7
	v_cvt_f64_f32_e32 v[7:8], v8
	v_and_or_b32 v5, 0x1ff, v6, v5
	v_lshl_or_b32 v11, v11, 9, 0x7c00
	v_lshrrev_b32_e32 v21, 8, v6
	v_cndmask_b32_e64 v19, v20, v19, s0
	v_cmp_gt_i32_e64 s0, 31, v23
	v_bfe_u32 v22, v6, 20, 11
	v_lshrrev_b32_e32 v6, 16, v6
	v_and_b32_e32 v20, 7, v19
	v_cndmask_b32_e64 v13, 0x7c00, v13, s0
	v_cmp_ne_u32_e64 s0, 0, v5
	v_lshrrev_b32_e32 v19, 2, v19
	v_cmp_eq_u32_e64 s1, 3, v20
	v_cndmask_b32_e64 v5, 0, 1, s0
	v_cmp_eq_u32_e64 s0, 0x40f, v23
	v_and_or_b32 v5, 0xffe, v21, v5
	v_cndmask_b32_e64 v11, v13, v11, s0
	v_cmp_lt_i32_e64 s0, 5, v20
	v_mul_f64 v[7:8], v[7:8], s[4:5]
	v_lshrrev_b32_e32 v13, 16, v16
	v_sub_nc_u32_e32 v16, 0x3f1, v22
	v_lshrrev_b32_e32 v20, 16, v1
	s_or_b32 s0, s1, s0
	v_or_b32_e32 v21, 0x1000, v5
	v_add_co_ci_u32_e64 v19, s0, 0, v19, s0
	v_med3_i32 v16, v16, 0, 13
	v_cmp_ne_u32_e64 s0, 0, v0
	v_mul_f16_sdwa v23, v123, v20 dst_sel:DWORD dst_unused:UNUSED_PAD src0_sel:WORD_1 src1_sel:DWORD
	v_and_or_b32 v11, 0x8000, v13, v11
	v_lshrrev_b32_e32 v24, v16, v21
	v_cndmask_b32_e64 v0, 0, 1, s0
	v_cmp_gt_i32_e64 s0, 31, v15
	v_fmac_f16_e32 v23, v123, v1
	v_and_b32_e32 v11, 0xffff, v11
	v_lshlrev_b32_e32 v13, v16, v24
	v_lshl_or_b32 v0, v0, 9, 0x7c00
	v_cndmask_b32_e64 v19, 0x7c00, v19, s0
	v_cmp_eq_u32_e64 s0, 0x40f, v15
	v_cvt_f32_f16_e32 v16, v23
	v_and_or_b32 v7, 0x1ff, v8, v7
	v_lshrrev_b32_e32 v15, 16, v14
	v_mul_f16_sdwa v1, v123, v1 dst_sel:DWORD dst_unused:UNUSED_PAD src0_sel:WORD_1 src1_sel:DWORD
	v_cndmask_b32_e64 v0, v19, v0, s0
	v_cmp_ne_u32_e64 s0, v13, v21
	v_cvt_f64_f32_e32 v[13:14], v16
	v_add_nc_u32_e32 v16, 0xfffffc10, v22
	v_lshrrev_b32_e32 v21, 8, v8
	v_and_or_b32 v0, 0x8000, v15, v0
	v_cndmask_b32_e64 v19, 0, 1, s0
	v_cmp_ne_u32_e64 s0, 0, v7
	v_bfe_u32 v22, v8, 20, 11
	v_fma_f16 v1, v123, v20, -v1
	v_lshl_or_b32 v0, v0, 16, v11
	v_or_b32_e32 v15, v24, v19
	v_lshl_or_b32 v19, v16, 12, v5
	v_cndmask_b32_e64 v7, 0, 1, s0
	v_cmp_gt_i32_e64 s0, 1, v16
	global_store_dword v[2:3], v0, off
	v_lshrrev_b32_e32 v8, 16, v8
	v_add_co_u32 v2, s2, v2, s6
	v_cndmask_b32_e64 v15, v19, v15, s0
	v_and_or_b32 v7, 0xffe, v21, v7
	v_sub_nc_u32_e32 v19, 0x3f1, v22
	v_add_co_ci_u32_e64 v3, s2, s7, v3, s2
	v_and_b32_e32 v9, 7, v15
	v_or_b32_e32 v11, 0x1000, v7
	v_med3_i32 v17, v19, 0, 13
	v_mul_f64 v[13:14], v[13:14], s[4:5]
	v_lshrrev_b32_e32 v0, 2, v15
	v_cmp_lt_i32_e64 s0, 5, v9
	v_cmp_eq_u32_e64 s1, 3, v9
	v_lshrrev_b32_e32 v18, v17, v11
	s_or_b32 s0, s1, s0
	v_lshlrev_b32_e32 v9, v17, v18
	v_add_co_ci_u32_e64 v15, s0, 0, v0, s0
	v_cvt_f32_f16_e32 v0, v1
	v_cmp_ne_u32_e64 s0, v9, v11
	v_add_nc_u32_e32 v11, 0xfffffc10, v22
	v_cvt_f64_f32_e32 v[0:1], v0
	v_cndmask_b32_e64 v9, 0, 1, s0
	v_cmp_ne_u32_e64 s0, 0, v5
	v_lshl_or_b32 v17, v11, 12, v7
	v_and_or_b32 v13, 0x1ff, v14, v13
	v_or_b32_e32 v9, v18, v9
	v_cndmask_b32_e64 v5, 0, 1, s0
	v_cmp_gt_i32_e64 s0, 31, v16
	v_bfe_u32 v18, v14, 20, 11
	v_lshl_or_b32 v5, v5, 9, 0x7c00
	v_cndmask_b32_e64 v15, 0x7c00, v15, s0
	v_cmp_gt_i32_e64 s0, 1, v11
	v_cndmask_b32_e64 v9, v17, v9, s0
	v_cmp_ne_u32_e64 s0, 0, v13
	v_lshrrev_b32_e32 v17, 8, v14
	v_mul_f64 v[0:1], v[0:1], s[4:5]
	v_cndmask_b32_e64 v13, 0, 1, s0
	v_cmp_eq_u32_e64 s0, 0x40f, v16
	v_sub_nc_u32_e32 v16, 0x3f1, v18
	v_and_or_b32 v13, 0xffe, v17, v13
	v_cndmask_b32_e64 v5, v15, v5, s0
	v_and_b32_e32 v15, 7, v9
	v_lshrrev_b32_e32 v17, 16, v12
	v_med3_i32 v16, v16, 0, 13
	v_or_b32_e32 v19, 0x1000, v13
	v_cmp_lt_i32_e64 s0, 5, v15
	v_cmp_eq_u32_e64 s1, 3, v15
	v_and_or_b32 v15, 0x8000, v6, v5
	v_lshrrev_b32_e32 v5, 2, v9
	v_mul_f16_sdwa v20, v122, v17 dst_sel:DWORD dst_unused:UNUSED_PAD src0_sel:WORD_1 src1_sel:DWORD
	v_lshrrev_b32_e32 v9, v16, v19
	s_or_b32 s0, s1, s0
	v_and_or_b32 v0, 0x1ff, v1, v0
	v_add_co_ci_u32_e64 v5, s0, 0, v5, s0
	v_cmp_ne_u32_e64 s0, 0, v7
	v_fmac_f16_e32 v20, v122, v12
	v_lshlrev_b32_e32 v16, v16, v9
	v_mul_f16_sdwa v12, v122, v12 dst_sel:DWORD dst_unused:UNUSED_PAD src0_sel:WORD_1 src1_sel:DWORD
	v_cndmask_b32_e64 v6, 0, 1, s0
	v_cmp_gt_i32_e64 s0, 31, v11
	v_cvt_f32_f16_e32 v7, v20
	v_lshl_or_b32 v21, v6, 9, 0x7c00
	v_cndmask_b32_e64 v20, 0x7c00, v5, s0
	v_cmp_ne_u32_e64 s0, v16, v19
	v_cvt_f64_f32_e32 v[5:6], v7
	v_add_nc_u32_e32 v16, 0xfffffc10, v18
	v_lshrrev_b32_e32 v18, 8, v1
	v_bfe_u32 v19, v1, 20, 11
	v_cndmask_b32_e64 v7, 0, 1, s0
	v_cmp_eq_u32_e64 s0, 0x40f, v11
	v_or_b32_e32 v7, v9, v7
	v_cndmask_b32_e64 v11, v20, v21, s0
	v_cmp_ne_u32_e64 s0, 0, v0
	v_lshl_or_b32 v9, v16, 12, v13
	v_and_or_b32 v8, 0x8000, v8, v11
	v_cndmask_b32_e64 v0, 0, 1, s0
	v_cmp_gt_i32_e64 s0, 1, v16
	v_and_b32_e32 v11, 0xffff, v15
	v_and_or_b32 v0, 0xffe, v18, v0
	v_cndmask_b32_e64 v7, v9, v7, s0
	v_sub_nc_u32_e32 v9, 0x3f1, v19
	v_mul_f64 v[5:6], v[5:6], s[4:5]
	v_lshl_or_b32 v20, v8, 16, v11
	v_or_b32_e32 v18, 0x1000, v0
	v_and_b32_e32 v15, 7, v7
	v_med3_i32 v9, v9, 0, 13
	v_lshrrev_b32_e32 v7, 2, v7
	v_fma_f16 v8, v122, v17, -v12
	v_cmp_lt_i32_e64 s0, 5, v15
	v_lshrrev_b32_e32 v11, v9, v18
	v_cmp_eq_u32_e64 s1, 3, v15
	v_cvt_f32_f16_e32 v8, v8
	v_add_nc_u32_e32 v15, 0xfffffc10, v19
	v_lshlrev_b32_e32 v9, v9, v11
	s_or_b32 s0, s1, s0
	v_add_co_ci_u32_e64 v12, s0, 0, v7, s0
	v_cmp_ne_u32_e64 s0, v9, v18
	v_cvt_f64_f32_e32 v[7:8], v8
	v_and_or_b32 v5, 0x1ff, v6, v5
	v_lshrrev_b32_e32 v17, 8, v6
	v_cndmask_b32_e64 v9, 0, 1, s0
	v_cmp_gt_i32_e64 s0, 31, v16
	v_bfe_u32 v18, v6, 20, 11
	v_or_b32_e32 v9, v11, v9
	v_cndmask_b32_e64 v12, 0x7c00, v12, s0
	v_cmp_ne_u32_e64 s0, 0, v5
	v_lshl_or_b32 v11, v15, 12, v0
	v_cndmask_b32_e64 v5, 0, 1, s0
	v_cmp_ne_u32_e64 s0, 0, v13
	v_and_or_b32 v5, 0xffe, v17, v5
	v_cndmask_b32_e64 v13, 0, 1, s0
	v_cmp_gt_i32_e64 s0, 1, v15
	v_lshrrev_b32_e32 v17, 16, v4
	v_mul_f64 v[7:8], v[7:8], s[4:5]
	v_or_b32_e32 v21, 0x1000, v5
	v_lshl_or_b32 v13, v13, 9, 0x7c00
	v_cndmask_b32_e64 v9, v11, v9, s0
	v_sub_nc_u32_e32 v11, 0x3f1, v18
	v_cmp_eq_u32_e64 s0, 0x40f, v16
	v_mul_f16_sdwa v22, v121, v17 dst_sel:DWORD dst_unused:UNUSED_PAD src0_sel:WORD_1 src1_sel:DWORD
	v_add_nc_u32_e32 v18, 0xfffffc10, v18
	v_and_b32_e32 v19, 7, v9
	v_med3_i32 v11, v11, 0, 13
	v_cndmask_b32_e64 v12, v12, v13, s0
	v_lshrrev_b32_e32 v13, 16, v14
	v_lshrrev_b32_e32 v9, 2, v9
	v_cmp_lt_i32_e64 s0, 5, v19
	v_lshrrev_b32_e32 v14, v11, v21
	v_cmp_eq_u32_e64 s1, 3, v19
	v_fmac_f16_e32 v22, v121, v4
	v_and_or_b32 v13, 0x8000, v13, v12
	v_mul_f16_sdwa v4, v121, v4 dst_sel:DWORD dst_unused:UNUSED_PAD src0_sel:WORD_1 src1_sel:DWORD
	v_lshlrev_b32_e32 v11, v11, v14
	s_or_b32 s0, s1, s0
	v_cvt_f32_f16_e32 v12, v22
	v_add_co_ci_u32_e64 v9, s0, 0, v9, s0
	v_cmp_ne_u32_e64 s0, v11, v21
	v_and_or_b32 v7, 0x1ff, v8, v7
	v_cvt_f64_f32_e32 v[11:12], v12
	v_bfe_u32 v19, v8, 20, 11
	v_and_b32_e32 v13, 0xffff, v13
	v_cndmask_b32_e64 v16, 0, 1, s0
	v_cmp_ne_u32_e64 s0, 0, v0
	v_fma_f16 v4, v121, v17, -v4
	v_lshrrev_b32_e32 v17, 16, v10
	v_or_b32_e32 v14, v14, v16
	v_cndmask_b32_e64 v0, 0, 1, s0
	v_cmp_gt_i32_e64 s0, 31, v15
	v_lshl_or_b32 v16, v18, 12, v5
	v_cvt_f32_f16_e32 v4, v4
	v_mul_f16_sdwa v22, v120, v17 dst_sel:DWORD dst_unused:UNUSED_PAD src0_sel:WORD_1 src1_sel:DWORD
	v_lshl_or_b32 v0, v0, 9, 0x7c00
	v_cndmask_b32_e64 v9, 0x7c00, v9, s0
	v_cmp_gt_i32_e64 s0, 1, v18
	v_fmac_f16_e32 v22, v120, v10
	v_mul_f16_sdwa v10, v120, v10 dst_sel:DWORD dst_unused:UNUSED_PAD src0_sel:WORD_1 src1_sel:DWORD
	v_cndmask_b32_e64 v14, v16, v14, s0
	v_cmp_ne_u32_e64 s0, 0, v7
	v_lshrrev_b32_e32 v16, 8, v8
	v_fma_f16 v10, v120, v17, -v10
	v_and_b32_e32 v21, 7, v14
	v_cndmask_b32_e64 v7, 0, 1, s0
	v_cmp_eq_u32_e64 s0, 0x40f, v15
	v_cmp_eq_u32_e64 s1, 3, v21
	v_and_or_b32 v15, 0xffe, v16, v7
	v_sub_nc_u32_e32 v7, 0x3f1, v19
	v_cndmask_b32_e64 v9, v9, v0, s0
	v_cmp_lt_i32_e64 s0, 5, v21
	v_lshrrev_b32_e32 v16, 16, v1
	v_mul_f64 v[0:1], v[11:12], s[4:5]
	v_lshrrev_b32_e32 v12, 2, v14
	v_or_b32_e32 v11, 0x1000, v15
	v_med3_i32 v7, v7, 0, 13
	s_or_b32 s0, s1, s0
	v_and_or_b32 v9, 0x8000, v16, v9
	v_add_co_ci_u32_e64 v12, s0, 0, v12, s0
	v_lshrrev_b32_e32 v14, v7, v11
	v_cmp_ne_u32_e64 s0, 0, v5
	v_lshl_or_b32 v13, v9, 16, v13
	v_add_nc_u32_e32 v16, 0xfffffc10, v19
	v_lshlrev_b32_e32 v7, v7, v14
	v_cndmask_b32_e64 v5, 0, 1, s0
	v_cmp_gt_i32_e64 s0, 31, v18
	v_lshl_or_b32 v5, v5, 9, 0x7c00
	v_cndmask_b32_e64 v9, 0x7c00, v12, s0
	v_cmp_ne_u32_e64 s0, v7, v11
	v_and_or_b32 v0, 0x1ff, v1, v0
	v_lshl_or_b32 v11, v16, 12, v15
	v_lshrrev_b32_e32 v12, 8, v1
	v_cndmask_b32_e64 v7, 0, 1, s0
	v_cmp_eq_u32_e64 s0, 0x40f, v18
	v_or_b32_e32 v7, v14, v7
	v_cndmask_b32_e64 v9, v9, v5, s0
	v_cmp_ne_u32_e64 s0, 0, v0
	v_bfe_u32 v14, v1, 20, 11
	v_cvt_f64_f32_e32 v[4:5], v4
	v_lshrrev_b32_e32 v1, 16, v1
	v_cndmask_b32_e64 v0, 0, 1, s0
	v_cmp_gt_i32_e64 s0, 1, v16
	v_and_or_b32 v0, 0xffe, v12, v0
	v_cndmask_b32_e64 v11, v11, v7, s0
	v_sub_nc_u32_e32 v7, 0x3f1, v14
	v_lshrrev_b32_e32 v12, 16, v6
	v_add_co_u32 v6, s0, v2, s6
	v_or_b32_e32 v19, 0x1000, v0
	v_med3_i32 v21, v7, 0, 13
	v_and_b32_e32 v18, 7, v11
	v_and_or_b32 v23, 0x8000, v12, v9
	v_add_co_ci_u32_e64 v7, s0, s7, v3, s0
	v_lshrrev_b32_e32 v9, v21, v19
	v_cmp_lt_i32_e64 s0, 5, v18
	v_cmp_eq_u32_e64 s1, 3, v18
	v_lshrrev_b32_e32 v11, 2, v11
	v_cvt_f32_f16_e32 v12, v22
	v_lshlrev_b32_e32 v18, v21, v9
	v_mul_f64 v[4:5], v[4:5], s[4:5]
	s_or_b32 s0, s1, s0
	v_add_nc_u32_e32 v14, 0xfffffc10, v14
	v_add_co_ci_u32_e64 v21, s0, 0, v11, s0
	v_cmp_ne_u32_e64 s0, v18, v19
	v_cvt_f64_f32_e32 v[11:12], v12
	v_cndmask_b32_e64 v18, 0, 1, s0
	v_cmp_ne_u32_e64 s0, 0, v15
	v_or_b32_e32 v9, v9, v18
	v_cndmask_b32_e64 v15, 0, 1, s0
	v_cmp_gt_i32_e64 s0, 31, v16
	v_lshl_or_b32 v18, v14, 12, v0
	v_lshl_or_b32 v15, v15, 9, 0x7c00
	v_cndmask_b32_e64 v17, 0x7c00, v21, s0
	v_cmp_gt_i32_e64 s0, 1, v14
	v_and_or_b32 v4, 0x1ff, v5, v4
	v_bfe_u32 v19, v5, 20, 11
	v_cndmask_b32_e64 v18, v18, v9, s0
	v_cvt_f32_f16_e32 v9, v10
	v_cmp_eq_u32_e64 s0, 0x40f, v16
	v_mul_f64 v[10:11], v[11:12], s[4:5]
	v_lshrrev_b32_e32 v16, 16, v8
	v_lshrrev_b32_e32 v12, 8, v5
	v_cvt_f64_f32_e32 v[8:9], v9
	v_cndmask_b32_e64 v15, v17, v15, s0
	v_cmp_ne_u32_e64 s0, 0, v4
	v_and_b32_e32 v17, 7, v18
	v_lshrrev_b32_e32 v5, 16, v5
	v_and_or_b32 v15, 0x8000, v16, v15
	v_and_b32_e32 v16, 0xffff, v23
	v_cndmask_b32_e64 v4, 0, 1, s0
	v_cmp_lt_i32_e64 s0, 5, v17
	v_cmp_eq_u32_e64 s1, 3, v17
	v_lshl_or_b32 v15, v15, 16, v16
	v_lshrrev_b32_e32 v16, 2, v18
	v_and_or_b32 v4, 0xffe, v12, v4
	v_sub_nc_u32_e32 v12, 0x3f1, v19
	s_or_b32 s0, s1, s0
	v_add_co_ci_u32_e64 v16, s0, 0, v16, s0
	v_or_b32_e32 v17, 0x1000, v4
	v_med3_i32 v12, v12, 0, 13
	v_cmp_ne_u32_e64 s0, 0, v0
	v_and_or_b32 v10, 0x1ff, v11, v10
	v_mul_f64 v[8:9], v[8:9], s[4:5]
	v_lshrrev_b32_e32 v21, 8, v11
	v_lshrrev_b32_e32 v18, v12, v17
	v_cndmask_b32_e64 v0, 0, 1, s0
	v_cmp_gt_i32_e64 s0, 31, v14
	v_bfe_u32 v22, v11, 20, 11
	v_lshrrev_b32_e32 v11, 16, v11
	v_lshlrev_b32_e32 v12, v12, v18
	v_lshl_or_b32 v0, v0, 9, 0x7c00
	v_cndmask_b32_e64 v16, 0x7c00, v16, s0
	v_cmp_ne_u32_e64 s0, 0, v10
	v_cndmask_b32_e64 v10, 0, 1, s0
	v_cmp_ne_u32_e64 s0, v12, v17
	v_add_nc_u32_e32 v17, 0xfffffc10, v19
	v_sub_nc_u32_e32 v19, 0x3f1, v22
	v_and_or_b32 v10, 0xffe, v21, v10
	v_cndmask_b32_e64 v12, 0, 1, s0
	v_cmp_eq_u32_e64 s0, 0x40f, v14
	v_lshl_or_b32 v14, v17, 12, v4
	v_and_or_b32 v8, 0x1ff, v9, v8
	v_bfe_u32 v21, v9, 20, 11
	v_or_b32_e32 v12, v18, v12
	v_cndmask_b32_e64 v0, v16, v0, s0
	v_or_b32_e32 v16, 0x1000, v10
	v_med3_i32 v18, v19, 0, 13
	v_cmp_gt_i32_e64 s0, 1, v17
	v_lshrrev_b32_e32 v19, 8, v9
	v_and_or_b32 v0, 0x8000, v1, v0
	v_cndmask_b32_e64 v12, v14, v12, s0
	v_lshrrev_b32_e32 v14, v18, v16
	v_cmp_ne_u32_e64 s0, 0, v8
	v_and_b32_e32 v0, 0xffff, v0
	v_and_b32_e32 v23, 7, v12
	v_lshlrev_b32_e32 v18, v18, v14
	v_cndmask_b32_e64 v8, 0, 1, s0
	v_lshrrev_b32_e32 v12, 2, v12
	v_cmp_lt_i32_e64 s0, 5, v23
	v_cmp_ne_u32_e64 s1, v18, v16
	v_and_or_b32 v1, 0xffe, v19, v8
	v_sub_nc_u32_e32 v8, 0x3f1, v21
	v_add_nc_u32_e32 v19, 0xfffffc10, v22
	v_cndmask_b32_e64 v16, 0, 1, s1
	v_cmp_eq_u32_e64 s1, 3, v23
	v_or_b32_e32 v18, 0x1000, v1
	v_med3_i32 v8, v8, 0, 13
	v_lshl_or_b32 v22, v19, 12, v10
	v_or_b32_e32 v14, v14, v16
	s_or_b32 s0, s1, s0
	v_add_co_ci_u32_e64 v12, s0, 0, v12, s0
	v_lshrrev_b32_e32 v16, v8, v18
	v_cmp_gt_i32_e64 s0, 1, v19
	v_lshlrev_b32_e32 v8, v8, v16
	v_cndmask_b32_e64 v14, v22, v14, s0
	v_cmp_ne_u32_e64 s0, 0, v4
	v_cndmask_b32_e64 v4, 0, 1, s0
	v_cmp_ne_u32_e64 s0, v8, v18
	v_add_nc_u32_e32 v18, 0xfffffc10, v21
	v_and_b32_e32 v21, 7, v14
	v_lshl_or_b32 v4, v4, 9, 0x7c00
	v_cndmask_b32_e64 v8, 0, 1, s0
	v_cmp_gt_i32_e64 s0, 31, v17
	v_cmp_gt_i32_e64 s2, 1, v18
	v_cmp_eq_u32_e64 s1, 3, v21
	v_or_b32_e32 v8, v16, v8
	v_lshl_or_b32 v16, v18, 12, v1
	v_cndmask_b32_e64 v12, 0x7c00, v12, s0
	v_cmp_lt_i32_e64 s0, 5, v21
	v_cndmask_b32_e64 v8, v16, v8, s2
	v_cmp_eq_u32_e64 s2, 0x40f, v17
	s_or_b32 s0, s1, s0
	v_cndmask_b32_e64 v4, v12, v4, s2
	v_lshrrev_b32_e32 v12, 2, v14
	v_and_b32_e32 v14, 7, v8
	v_lshrrev_b32_e32 v8, 2, v8
	v_cmp_gt_i32_e64 s2, 31, v19
	v_add_co_ci_u32_e64 v12, s0, 0, v12, s0
	v_cmp_ne_u32_e64 s0, 0, v10
	v_cmp_eq_u32_e64 s1, 3, v14
	v_cndmask_b32_e64 v12, 0x7c00, v12, s2
	v_cndmask_b32_e64 v10, 0, 1, s0
	v_cmp_lt_i32_e64 s0, 5, v14
	v_lshl_or_b32 v10, v10, 9, 0x7c00
	s_or_b32 s0, s1, s0
	v_add_co_ci_u32_e64 v8, s0, 0, v8, s0
	v_cmp_ne_u32_e64 s0, 0, v1
	v_cndmask_b32_e64 v1, 0, 1, s0
	v_cmp_eq_u32_e64 s0, 0x40f, v19
	v_lshl_or_b32 v1, v1, 9, 0x7c00
	v_cndmask_b32_e64 v10, v12, v10, s0
	v_cmp_gt_i32_e64 s0, 31, v18
	v_and_or_b32 v12, 0x8000, v5, v4
	v_and_or_b32 v10, 0x8000, v11, v10
	v_cndmask_b32_e64 v8, 0x7c00, v8, s0
	v_cmp_eq_u32_e64 s0, 0x40f, v18
	v_lshl_or_b32 v11, v12, 16, v0
	v_cndmask_b32_e64 v1, v8, v1, s0
	v_lshrrev_b32_e32 v8, 16, v9
	v_add_co_u32 v4, s0, v6, s6
	v_add_co_ci_u32_e64 v5, s0, s7, v7, s0
	v_and_or_b32 v0, 0x8000, v8, v1
	v_and_b32_e32 v1, 0xffff, v10
	v_add_co_u32 v8, s0, v4, s6
	v_add_co_ci_u32_e64 v9, s0, s7, v5, s0
	v_lshl_or_b32 v10, v0, 16, v1
	v_add_co_u32 v0, s0, v8, s6
	v_add_co_ci_u32_e64 v1, s0, s7, v9, s0
	global_store_dword v[2:3], v20, off
	global_store_dword v[6:7], v13, off
	;; [unrolled: 1-line block ×5, first 2 shown]
	s_and_b32 exec_lo, exec_lo, vcc_lo
	s_cbranch_execz .LBB0_15
; %bb.14:
	global_load_dword v4, v[76:77], off offset:720
	v_add_nc_u32_e32 v2, 0x280, v119
	ds_read2_b32 v[2:3], v2 offset0:20 offset1:236
	s_waitcnt lgkmcnt(0)
	v_lshrrev_b32_e32 v5, 16, v2
	s_waitcnt vmcnt(0)
	v_mul_f16_sdwa v6, v5, v4 dst_sel:DWORD dst_unused:UNUSED_PAD src0_sel:DWORD src1_sel:WORD_1
	v_mul_f16_sdwa v7, v2, v4 dst_sel:DWORD dst_unused:UNUSED_PAD src0_sel:DWORD src1_sel:WORD_1
	v_fmac_f16_e32 v6, v2, v4
	v_fma_f16 v2, v4, v5, -v7
	v_cvt_f32_f16_e32 v4, v6
	v_cvt_f32_f16_e32 v2, v2
	v_cvt_f64_f32_e32 v[4:5], v4
	v_cvt_f64_f32_e32 v[6:7], v2
	v_mul_f64 v[4:5], v[4:5], s[4:5]
	v_mul_f64 v[6:7], v[6:7], s[4:5]
	v_and_or_b32 v2, 0x1ff, v5, v4
	v_and_or_b32 v6, 0x1ff, v7, v6
	v_lshrrev_b32_e32 v4, 8, v5
	v_bfe_u32 v8, v5, 20, 11
	v_lshrrev_b32_e32 v9, 8, v7
	v_cmp_ne_u32_e32 vcc_lo, 0, v2
	v_bfe_u32 v10, v7, 20, 11
	v_lshrrev_b32_e32 v5, 16, v5
	v_sub_nc_u32_e32 v11, 0x3f1, v8
	v_add_nc_u32_e32 v8, 0xfffffc10, v8
	v_cndmask_b32_e64 v2, 0, 1, vcc_lo
	v_cmp_ne_u32_e32 vcc_lo, 0, v6
	v_lshrrev_b32_e32 v7, 16, v7
	v_and_or_b32 v2, 0xffe, v4, v2
	v_cndmask_b32_e64 v6, 0, 1, vcc_lo
	v_sub_nc_u32_e32 v4, 0x3f1, v10
	v_add_nc_u32_e32 v10, 0xfffffc10, v10
	v_and_or_b32 v6, 0xffe, v9, v6
	v_med3_i32 v9, v11, 0, 13
	v_or_b32_e32 v11, 0x1000, v2
	v_med3_i32 v4, v4, 0, 13
	v_or_b32_e32 v12, 0x1000, v6
	v_lshrrev_b32_e32 v13, v9, v11
	v_lshrrev_b32_e32 v14, v4, v12
	v_lshlrev_b32_e32 v9, v9, v13
	v_lshlrev_b32_e32 v4, v4, v14
	v_cmp_ne_u32_e32 vcc_lo, v9, v11
	v_lshl_or_b32 v11, v8, 12, v2
	v_cndmask_b32_e64 v9, 0, 1, vcc_lo
	v_cmp_ne_u32_e32 vcc_lo, v4, v12
	v_lshl_or_b32 v12, v10, 12, v6
	v_or_b32_e32 v9, v13, v9
	v_cndmask_b32_e64 v4, 0, 1, vcc_lo
	v_cmp_gt_i32_e32 vcc_lo, 1, v8
	v_or_b32_e32 v4, v14, v4
	v_cndmask_b32_e32 v9, v11, v9, vcc_lo
	v_cmp_gt_i32_e32 vcc_lo, 1, v10
	v_and_b32_e32 v11, 7, v9
	v_cndmask_b32_e32 v4, v12, v4, vcc_lo
	v_cmp_ne_u32_e32 vcc_lo, 0, v2
	v_lshrrev_b32_e32 v9, 2, v9
	v_cmp_eq_u32_e64 s0, 3, v11
	v_and_b32_e32 v12, 7, v4
	v_cndmask_b32_e64 v2, 0, 1, vcc_lo
	v_cmp_ne_u32_e32 vcc_lo, 0, v6
	v_lshrrev_b32_e32 v4, 2, v4
	v_cmp_lt_i32_e64 s1, 5, v12
	v_cmp_eq_u32_e64 s2, 3, v12
	v_cndmask_b32_e64 v6, 0, 1, vcc_lo
	v_cmp_lt_i32_e32 vcc_lo, 5, v11
	v_lshl_or_b32 v2, v2, 9, 0x7c00
	v_lshl_or_b32 v6, v6, 9, 0x7c00
	s_or_b32 vcc_lo, s0, vcc_lo
	v_add_co_ci_u32_e32 v9, vcc_lo, 0, v9, vcc_lo
	s_or_b32 vcc_lo, s2, s1
	v_add_co_ci_u32_e32 v4, vcc_lo, 0, v4, vcc_lo
	v_cmp_gt_i32_e32 vcc_lo, 31, v8
	v_cndmask_b32_e32 v9, 0x7c00, v9, vcc_lo
	v_cmp_gt_i32_e32 vcc_lo, 31, v10
	v_cndmask_b32_e32 v4, 0x7c00, v4, vcc_lo
	v_cmp_eq_u32_e32 vcc_lo, 0x40f, v8
	v_cndmask_b32_e32 v2, v9, v2, vcc_lo
	v_cmp_eq_u32_e32 vcc_lo, 0x40f, v10
	v_and_or_b32 v2, 0x8000, v5, v2
	v_cndmask_b32_e32 v4, v4, v6, vcc_lo
	v_add_co_u32 v0, vcc_lo, v0, s10
	v_add_co_ci_u32_e32 v1, vcc_lo, s11, v1, vcc_lo
	v_and_or_b32 v4, 0x8000, v7, v4
	v_and_b32_e32 v2, 0xffff, v2
	v_lshl_or_b32 v2, v4, 16, v2
	v_lshrrev_b32_e32 v4, 16, v3
	global_store_dword v[0:1], v2, off
	global_load_dword v2, v[76:77], off offset:1584
	s_waitcnt vmcnt(0)
	v_mul_f16_sdwa v5, v4, v2 dst_sel:DWORD dst_unused:UNUSED_PAD src0_sel:DWORD src1_sel:WORD_1
	v_mul_f16_sdwa v6, v3, v2 dst_sel:DWORD dst_unused:UNUSED_PAD src0_sel:DWORD src1_sel:WORD_1
	v_fmac_f16_e32 v5, v3, v2
	v_fma_f16 v2, v2, v4, -v6
	v_cvt_f32_f16_e32 v3, v5
	v_cvt_f32_f16_e32 v4, v2
	v_cvt_f64_f32_e32 v[2:3], v3
	v_cvt_f64_f32_e32 v[4:5], v4
	v_mul_f64 v[2:3], v[2:3], s[4:5]
	v_mul_f64 v[4:5], v[4:5], s[4:5]
	v_and_or_b32 v2, 0x1ff, v3, v2
	v_and_or_b32 v4, 0x1ff, v5, v4
	v_lshrrev_b32_e32 v6, 8, v3
	v_bfe_u32 v7, v3, 20, 11
	v_lshrrev_b32_e32 v8, 8, v5
	v_cmp_ne_u32_e32 vcc_lo, 0, v2
	v_bfe_u32 v9, v5, 20, 11
	v_lshrrev_b32_e32 v3, 16, v3
	v_sub_nc_u32_e32 v10, 0x3f1, v7
	v_add_nc_u32_e32 v7, 0xfffffc10, v7
	v_cndmask_b32_e64 v2, 0, 1, vcc_lo
	v_cmp_ne_u32_e32 vcc_lo, 0, v4
	v_lshrrev_b32_e32 v5, 16, v5
	v_and_or_b32 v2, 0xffe, v6, v2
	v_cndmask_b32_e64 v4, 0, 1, vcc_lo
	v_sub_nc_u32_e32 v6, 0x3f1, v9
	v_add_nc_u32_e32 v9, 0xfffffc10, v9
	v_and_or_b32 v4, 0xffe, v8, v4
	v_med3_i32 v8, v10, 0, 13
	v_or_b32_e32 v10, 0x1000, v2
	v_med3_i32 v6, v6, 0, 13
	v_or_b32_e32 v11, 0x1000, v4
	v_lshrrev_b32_e32 v12, v8, v10
	v_lshrrev_b32_e32 v13, v6, v11
	v_lshlrev_b32_e32 v8, v8, v12
	v_lshlrev_b32_e32 v6, v6, v13
	v_cmp_ne_u32_e32 vcc_lo, v8, v10
	v_lshl_or_b32 v10, v7, 12, v2
	v_cndmask_b32_e64 v8, 0, 1, vcc_lo
	v_cmp_ne_u32_e32 vcc_lo, v6, v11
	v_lshl_or_b32 v11, v9, 12, v4
	v_or_b32_e32 v8, v12, v8
	v_cndmask_b32_e64 v6, 0, 1, vcc_lo
	v_cmp_gt_i32_e32 vcc_lo, 1, v7
	v_or_b32_e32 v6, v13, v6
	v_cndmask_b32_e32 v8, v10, v8, vcc_lo
	v_cmp_gt_i32_e32 vcc_lo, 1, v9
	v_and_b32_e32 v10, 7, v8
	v_cndmask_b32_e32 v6, v11, v6, vcc_lo
	v_cmp_ne_u32_e32 vcc_lo, 0, v2
	v_lshrrev_b32_e32 v8, 2, v8
	v_cmp_eq_u32_e64 s0, 3, v10
	v_and_b32_e32 v11, 7, v6
	v_cndmask_b32_e64 v2, 0, 1, vcc_lo
	v_cmp_ne_u32_e32 vcc_lo, 0, v4
	v_lshrrev_b32_e32 v6, 2, v6
	v_cmp_lt_i32_e64 s1, 5, v11
	v_cmp_eq_u32_e64 s2, 3, v11
	v_cndmask_b32_e64 v4, 0, 1, vcc_lo
	v_cmp_lt_i32_e32 vcc_lo, 5, v10
	v_lshl_or_b32 v2, v2, 9, 0x7c00
	v_lshl_or_b32 v4, v4, 9, 0x7c00
	s_or_b32 vcc_lo, s0, vcc_lo
	v_add_co_ci_u32_e32 v8, vcc_lo, 0, v8, vcc_lo
	s_or_b32 vcc_lo, s2, s1
	v_add_co_ci_u32_e32 v6, vcc_lo, 0, v6, vcc_lo
	v_cmp_gt_i32_e32 vcc_lo, 31, v7
	v_cndmask_b32_e32 v8, 0x7c00, v8, vcc_lo
	v_cmp_gt_i32_e32 vcc_lo, 31, v9
	v_cndmask_b32_e32 v6, 0x7c00, v6, vcc_lo
	v_cmp_eq_u32_e32 vcc_lo, 0x40f, v7
	v_cndmask_b32_e32 v2, v8, v2, vcc_lo
	v_cmp_eq_u32_e32 vcc_lo, 0x40f, v9
	v_and_or_b32 v2, 0x8000, v3, v2
	v_cndmask_b32_e32 v4, v6, v4, vcc_lo
	v_add_co_u32 v0, vcc_lo, v0, s6
	v_add_co_ci_u32_e32 v1, vcc_lo, s7, v1, vcc_lo
	v_and_or_b32 v3, 0x8000, v5, v4
	v_and_b32_e32 v2, 0xffff, v2
	v_lshl_or_b32 v2, v3, 16, v2
	global_store_dword v[0:1], v2, off
	global_load_dword v4, v[74:75], off offset:400
	v_add_nc_u32_e32 v2, 0x900, v119
	ds_read2_b32 v[2:3], v2 offset0:36 offset1:252
	s_waitcnt lgkmcnt(0)
	v_lshrrev_b32_e32 v5, 16, v2
	s_waitcnt vmcnt(0)
	v_mul_f16_sdwa v6, v5, v4 dst_sel:DWORD dst_unused:UNUSED_PAD src0_sel:DWORD src1_sel:WORD_1
	v_mul_f16_sdwa v7, v2, v4 dst_sel:DWORD dst_unused:UNUSED_PAD src0_sel:DWORD src1_sel:WORD_1
	v_fmac_f16_e32 v6, v2, v4
	v_fma_f16 v2, v4, v5, -v7
	v_cvt_f32_f16_e32 v4, v6
	v_cvt_f32_f16_e32 v2, v2
	v_cvt_f64_f32_e32 v[4:5], v4
	v_cvt_f64_f32_e32 v[6:7], v2
	v_mul_f64 v[4:5], v[4:5], s[4:5]
	v_mul_f64 v[6:7], v[6:7], s[4:5]
	v_and_or_b32 v2, 0x1ff, v5, v4
	v_and_or_b32 v6, 0x1ff, v7, v6
	v_lshrrev_b32_e32 v4, 8, v5
	v_bfe_u32 v8, v5, 20, 11
	v_lshrrev_b32_e32 v9, 8, v7
	v_cmp_ne_u32_e32 vcc_lo, 0, v2
	v_bfe_u32 v10, v7, 20, 11
	v_lshrrev_b32_e32 v5, 16, v5
	v_sub_nc_u32_e32 v11, 0x3f1, v8
	v_add_nc_u32_e32 v8, 0xfffffc10, v8
	v_cndmask_b32_e64 v2, 0, 1, vcc_lo
	v_cmp_ne_u32_e32 vcc_lo, 0, v6
	v_lshrrev_b32_e32 v7, 16, v7
	v_and_or_b32 v2, 0xffe, v4, v2
	v_cndmask_b32_e64 v6, 0, 1, vcc_lo
	v_sub_nc_u32_e32 v4, 0x3f1, v10
	v_add_nc_u32_e32 v10, 0xfffffc10, v10
	v_and_or_b32 v6, 0xffe, v9, v6
	v_med3_i32 v9, v11, 0, 13
	v_or_b32_e32 v11, 0x1000, v2
	v_med3_i32 v4, v4, 0, 13
	v_or_b32_e32 v12, 0x1000, v6
	v_lshrrev_b32_e32 v13, v9, v11
	v_lshrrev_b32_e32 v14, v4, v12
	v_lshlrev_b32_e32 v9, v9, v13
	v_lshlrev_b32_e32 v4, v4, v14
	v_cmp_ne_u32_e32 vcc_lo, v9, v11
	v_lshl_or_b32 v11, v8, 12, v2
	v_cndmask_b32_e64 v9, 0, 1, vcc_lo
	v_cmp_ne_u32_e32 vcc_lo, v4, v12
	v_lshl_or_b32 v12, v10, 12, v6
	v_or_b32_e32 v9, v13, v9
	v_cndmask_b32_e64 v4, 0, 1, vcc_lo
	v_cmp_gt_i32_e32 vcc_lo, 1, v8
	v_or_b32_e32 v4, v14, v4
	v_cndmask_b32_e32 v9, v11, v9, vcc_lo
	v_cmp_gt_i32_e32 vcc_lo, 1, v10
	v_and_b32_e32 v11, 7, v9
	v_cndmask_b32_e32 v4, v12, v4, vcc_lo
	v_cmp_ne_u32_e32 vcc_lo, 0, v2
	v_lshrrev_b32_e32 v9, 2, v9
	v_cmp_eq_u32_e64 s0, 3, v11
	v_and_b32_e32 v12, 7, v4
	v_cndmask_b32_e64 v2, 0, 1, vcc_lo
	v_cmp_ne_u32_e32 vcc_lo, 0, v6
	v_lshrrev_b32_e32 v4, 2, v4
	v_cmp_lt_i32_e64 s1, 5, v12
	v_cmp_eq_u32_e64 s2, 3, v12
	v_cndmask_b32_e64 v6, 0, 1, vcc_lo
	v_cmp_lt_i32_e32 vcc_lo, 5, v11
	v_lshl_or_b32 v2, v2, 9, 0x7c00
	v_lshl_or_b32 v6, v6, 9, 0x7c00
	s_or_b32 vcc_lo, s0, vcc_lo
	v_add_co_ci_u32_e32 v9, vcc_lo, 0, v9, vcc_lo
	s_or_b32 vcc_lo, s2, s1
	v_add_co_ci_u32_e32 v4, vcc_lo, 0, v4, vcc_lo
	v_cmp_gt_i32_e32 vcc_lo, 31, v8
	v_cndmask_b32_e32 v9, 0x7c00, v9, vcc_lo
	v_cmp_gt_i32_e32 vcc_lo, 31, v10
	v_cndmask_b32_e32 v4, 0x7c00, v4, vcc_lo
	v_cmp_eq_u32_e32 vcc_lo, 0x40f, v8
	v_cndmask_b32_e32 v2, v9, v2, vcc_lo
	v_cmp_eq_u32_e32 vcc_lo, 0x40f, v10
	v_and_or_b32 v2, 0x8000, v5, v2
	v_cndmask_b32_e32 v4, v4, v6, vcc_lo
	v_add_co_u32 v0, vcc_lo, v0, s6
	v_add_co_ci_u32_e32 v1, vcc_lo, s7, v1, vcc_lo
	v_and_or_b32 v4, 0x8000, v7, v4
	v_and_b32_e32 v2, 0xffff, v2
	v_lshl_or_b32 v2, v4, 16, v2
	v_lshrrev_b32_e32 v4, 16, v3
	global_store_dword v[0:1], v2, off
	global_load_dword v2, v[74:75], off offset:1264
	s_waitcnt vmcnt(0)
	v_mul_f16_sdwa v5, v4, v2 dst_sel:DWORD dst_unused:UNUSED_PAD src0_sel:DWORD src1_sel:WORD_1
	v_mul_f16_sdwa v6, v3, v2 dst_sel:DWORD dst_unused:UNUSED_PAD src0_sel:DWORD src1_sel:WORD_1
	v_fmac_f16_e32 v5, v3, v2
	v_fma_f16 v2, v2, v4, -v6
	v_cvt_f32_f16_e32 v3, v5
	v_cvt_f32_f16_e32 v4, v2
	v_cvt_f64_f32_e32 v[2:3], v3
	v_cvt_f64_f32_e32 v[4:5], v4
	v_mul_f64 v[2:3], v[2:3], s[4:5]
	v_mul_f64 v[4:5], v[4:5], s[4:5]
	v_and_or_b32 v2, 0x1ff, v3, v2
	v_and_or_b32 v4, 0x1ff, v5, v4
	v_lshrrev_b32_e32 v6, 8, v3
	v_bfe_u32 v7, v3, 20, 11
	v_lshrrev_b32_e32 v8, 8, v5
	v_cmp_ne_u32_e32 vcc_lo, 0, v2
	v_bfe_u32 v9, v5, 20, 11
	v_lshrrev_b32_e32 v3, 16, v3
	v_sub_nc_u32_e32 v10, 0x3f1, v7
	v_add_nc_u32_e32 v7, 0xfffffc10, v7
	v_cndmask_b32_e64 v2, 0, 1, vcc_lo
	v_cmp_ne_u32_e32 vcc_lo, 0, v4
	v_lshrrev_b32_e32 v5, 16, v5
	v_and_or_b32 v2, 0xffe, v6, v2
	v_cndmask_b32_e64 v4, 0, 1, vcc_lo
	v_sub_nc_u32_e32 v6, 0x3f1, v9
	v_add_nc_u32_e32 v9, 0xfffffc10, v9
	v_and_or_b32 v4, 0xffe, v8, v4
	v_med3_i32 v8, v10, 0, 13
	v_or_b32_e32 v10, 0x1000, v2
	v_med3_i32 v6, v6, 0, 13
	v_or_b32_e32 v11, 0x1000, v4
	v_lshrrev_b32_e32 v12, v8, v10
	v_lshrrev_b32_e32 v13, v6, v11
	v_lshlrev_b32_e32 v8, v8, v12
	v_lshlrev_b32_e32 v6, v6, v13
	v_cmp_ne_u32_e32 vcc_lo, v8, v10
	v_lshl_or_b32 v10, v7, 12, v2
	v_cndmask_b32_e64 v8, 0, 1, vcc_lo
	v_cmp_ne_u32_e32 vcc_lo, v6, v11
	v_lshl_or_b32 v11, v9, 12, v4
	v_or_b32_e32 v8, v12, v8
	v_cndmask_b32_e64 v6, 0, 1, vcc_lo
	v_cmp_gt_i32_e32 vcc_lo, 1, v7
	v_or_b32_e32 v6, v13, v6
	v_cndmask_b32_e32 v8, v10, v8, vcc_lo
	v_cmp_gt_i32_e32 vcc_lo, 1, v9
	v_and_b32_e32 v10, 7, v8
	v_cndmask_b32_e32 v6, v11, v6, vcc_lo
	v_cmp_ne_u32_e32 vcc_lo, 0, v2
	v_lshrrev_b32_e32 v8, 2, v8
	v_cmp_eq_u32_e64 s0, 3, v10
	v_and_b32_e32 v11, 7, v6
	v_cndmask_b32_e64 v2, 0, 1, vcc_lo
	v_cmp_ne_u32_e32 vcc_lo, 0, v4
	v_lshrrev_b32_e32 v6, 2, v6
	v_cmp_lt_i32_e64 s1, 5, v11
	v_cmp_eq_u32_e64 s2, 3, v11
	v_cndmask_b32_e64 v4, 0, 1, vcc_lo
	v_cmp_lt_i32_e32 vcc_lo, 5, v10
	v_lshl_or_b32 v2, v2, 9, 0x7c00
	v_lshl_or_b32 v4, v4, 9, 0x7c00
	s_or_b32 vcc_lo, s0, vcc_lo
	v_add_co_ci_u32_e32 v8, vcc_lo, 0, v8, vcc_lo
	s_or_b32 vcc_lo, s2, s1
	v_add_co_ci_u32_e32 v6, vcc_lo, 0, v6, vcc_lo
	v_cmp_gt_i32_e32 vcc_lo, 31, v7
	v_cndmask_b32_e32 v8, 0x7c00, v8, vcc_lo
	v_cmp_gt_i32_e32 vcc_lo, 31, v9
	v_cndmask_b32_e32 v6, 0x7c00, v6, vcc_lo
	v_cmp_eq_u32_e32 vcc_lo, 0x40f, v7
	v_cndmask_b32_e32 v2, v8, v2, vcc_lo
	v_cmp_eq_u32_e32 vcc_lo, 0x40f, v9
	v_and_or_b32 v2, 0x8000, v3, v2
	v_cndmask_b32_e32 v4, v6, v4, vcc_lo
	v_add_co_u32 v0, vcc_lo, v0, s6
	v_add_co_ci_u32_e32 v1, vcc_lo, s7, v1, vcc_lo
	v_and_or_b32 v3, 0x8000, v5, v4
	v_and_b32_e32 v2, 0xffff, v2
	v_lshl_or_b32 v2, v3, 16, v2
	global_store_dword v[0:1], v2, off
	global_load_dword v4, v[72:73], off offset:80
	ds_read2_b32 v[2:3], v85 offset0:20 offset1:236
	s_waitcnt lgkmcnt(0)
	v_lshrrev_b32_e32 v5, 16, v2
	s_waitcnt vmcnt(0)
	v_mul_f16_sdwa v6, v5, v4 dst_sel:DWORD dst_unused:UNUSED_PAD src0_sel:DWORD src1_sel:WORD_1
	v_mul_f16_sdwa v7, v2, v4 dst_sel:DWORD dst_unused:UNUSED_PAD src0_sel:DWORD src1_sel:WORD_1
	v_fmac_f16_e32 v6, v2, v4
	v_fma_f16 v2, v4, v5, -v7
	v_cvt_f32_f16_e32 v4, v6
	v_cvt_f32_f16_e32 v2, v2
	v_cvt_f64_f32_e32 v[4:5], v4
	v_cvt_f64_f32_e32 v[6:7], v2
	v_mul_f64 v[4:5], v[4:5], s[4:5]
	v_mul_f64 v[6:7], v[6:7], s[4:5]
	v_and_or_b32 v2, 0x1ff, v5, v4
	v_and_or_b32 v6, 0x1ff, v7, v6
	v_lshrrev_b32_e32 v4, 8, v5
	v_bfe_u32 v8, v5, 20, 11
	v_lshrrev_b32_e32 v9, 8, v7
	v_cmp_ne_u32_e32 vcc_lo, 0, v2
	v_bfe_u32 v10, v7, 20, 11
	v_lshrrev_b32_e32 v5, 16, v5
	v_sub_nc_u32_e32 v11, 0x3f1, v8
	v_add_nc_u32_e32 v8, 0xfffffc10, v8
	v_cndmask_b32_e64 v2, 0, 1, vcc_lo
	v_cmp_ne_u32_e32 vcc_lo, 0, v6
	v_lshrrev_b32_e32 v7, 16, v7
	v_and_or_b32 v2, 0xffe, v4, v2
	v_cndmask_b32_e64 v6, 0, 1, vcc_lo
	v_sub_nc_u32_e32 v4, 0x3f1, v10
	v_add_nc_u32_e32 v10, 0xfffffc10, v10
	v_and_or_b32 v6, 0xffe, v9, v6
	v_med3_i32 v9, v11, 0, 13
	v_or_b32_e32 v11, 0x1000, v2
	v_med3_i32 v4, v4, 0, 13
	v_or_b32_e32 v12, 0x1000, v6
	v_lshrrev_b32_e32 v13, v9, v11
	v_lshrrev_b32_e32 v14, v4, v12
	v_lshlrev_b32_e32 v9, v9, v13
	v_lshlrev_b32_e32 v4, v4, v14
	v_cmp_ne_u32_e32 vcc_lo, v9, v11
	v_lshl_or_b32 v11, v8, 12, v2
	v_cndmask_b32_e64 v9, 0, 1, vcc_lo
	v_cmp_ne_u32_e32 vcc_lo, v4, v12
	v_lshl_or_b32 v12, v10, 12, v6
	v_or_b32_e32 v9, v13, v9
	v_cndmask_b32_e64 v4, 0, 1, vcc_lo
	v_cmp_gt_i32_e32 vcc_lo, 1, v8
	v_or_b32_e32 v4, v14, v4
	v_cndmask_b32_e32 v9, v11, v9, vcc_lo
	v_cmp_gt_i32_e32 vcc_lo, 1, v10
	v_and_b32_e32 v11, 7, v9
	v_cndmask_b32_e32 v4, v12, v4, vcc_lo
	v_cmp_ne_u32_e32 vcc_lo, 0, v2
	v_lshrrev_b32_e32 v9, 2, v9
	v_cmp_eq_u32_e64 s0, 3, v11
	v_and_b32_e32 v12, 7, v4
	v_cndmask_b32_e64 v2, 0, 1, vcc_lo
	v_cmp_ne_u32_e32 vcc_lo, 0, v6
	v_lshrrev_b32_e32 v4, 2, v4
	v_cmp_lt_i32_e64 s1, 5, v12
	v_cmp_eq_u32_e64 s2, 3, v12
	v_cndmask_b32_e64 v6, 0, 1, vcc_lo
	v_cmp_lt_i32_e32 vcc_lo, 5, v11
	v_lshl_or_b32 v2, v2, 9, 0x7c00
	v_lshl_or_b32 v6, v6, 9, 0x7c00
	s_or_b32 vcc_lo, s0, vcc_lo
	v_add_co_ci_u32_e32 v9, vcc_lo, 0, v9, vcc_lo
	s_or_b32 vcc_lo, s2, s1
	v_add_co_ci_u32_e32 v4, vcc_lo, 0, v4, vcc_lo
	v_cmp_gt_i32_e32 vcc_lo, 31, v8
	v_cndmask_b32_e32 v9, 0x7c00, v9, vcc_lo
	v_cmp_gt_i32_e32 vcc_lo, 31, v10
	v_cndmask_b32_e32 v4, 0x7c00, v4, vcc_lo
	v_cmp_eq_u32_e32 vcc_lo, 0x40f, v8
	v_cndmask_b32_e32 v2, v9, v2, vcc_lo
	v_cmp_eq_u32_e32 vcc_lo, 0x40f, v10
	v_and_or_b32 v2, 0x8000, v5, v2
	v_cndmask_b32_e32 v4, v4, v6, vcc_lo
	v_add_co_u32 v0, vcc_lo, v0, s6
	v_add_co_ci_u32_e32 v1, vcc_lo, s7, v1, vcc_lo
	v_and_or_b32 v4, 0x8000, v7, v4
	v_and_b32_e32 v2, 0xffff, v2
	v_lshl_or_b32 v2, v4, 16, v2
	v_lshrrev_b32_e32 v4, 16, v3
	global_store_dword v[0:1], v2, off
	global_load_dword v2, v[72:73], off offset:944
	s_waitcnt vmcnt(0)
	v_mul_f16_sdwa v5, v4, v2 dst_sel:DWORD dst_unused:UNUSED_PAD src0_sel:DWORD src1_sel:WORD_1
	v_mul_f16_sdwa v6, v3, v2 dst_sel:DWORD dst_unused:UNUSED_PAD src0_sel:DWORD src1_sel:WORD_1
	v_fmac_f16_e32 v5, v3, v2
	v_fma_f16 v2, v2, v4, -v6
	v_cvt_f32_f16_e32 v3, v5
	v_cvt_f32_f16_e32 v4, v2
	v_cvt_f64_f32_e32 v[2:3], v3
	v_cvt_f64_f32_e32 v[4:5], v4
	v_mul_f64 v[2:3], v[2:3], s[4:5]
	v_mul_f64 v[4:5], v[4:5], s[4:5]
	v_and_or_b32 v2, 0x1ff, v3, v2
	v_and_or_b32 v4, 0x1ff, v5, v4
	v_lshrrev_b32_e32 v6, 8, v3
	v_bfe_u32 v7, v3, 20, 11
	v_lshrrev_b32_e32 v8, 8, v5
	v_cmp_ne_u32_e32 vcc_lo, 0, v2
	v_bfe_u32 v9, v5, 20, 11
	v_lshrrev_b32_e32 v3, 16, v3
	v_sub_nc_u32_e32 v10, 0x3f1, v7
	v_add_nc_u32_e32 v7, 0xfffffc10, v7
	v_cndmask_b32_e64 v2, 0, 1, vcc_lo
	v_cmp_ne_u32_e32 vcc_lo, 0, v4
	v_lshrrev_b32_e32 v5, 16, v5
	v_and_or_b32 v2, 0xffe, v6, v2
	v_cndmask_b32_e64 v4, 0, 1, vcc_lo
	v_sub_nc_u32_e32 v6, 0x3f1, v9
	v_add_nc_u32_e32 v9, 0xfffffc10, v9
	v_and_or_b32 v4, 0xffe, v8, v4
	v_med3_i32 v8, v10, 0, 13
	v_or_b32_e32 v10, 0x1000, v2
	v_med3_i32 v6, v6, 0, 13
	v_or_b32_e32 v11, 0x1000, v4
	v_lshrrev_b32_e32 v12, v8, v10
	v_lshrrev_b32_e32 v13, v6, v11
	v_lshlrev_b32_e32 v8, v8, v12
	v_lshlrev_b32_e32 v6, v6, v13
	v_cmp_ne_u32_e32 vcc_lo, v8, v10
	v_lshl_or_b32 v10, v7, 12, v2
	v_cndmask_b32_e64 v8, 0, 1, vcc_lo
	v_cmp_ne_u32_e32 vcc_lo, v6, v11
	v_lshl_or_b32 v11, v9, 12, v4
	v_or_b32_e32 v8, v12, v8
	v_cndmask_b32_e64 v6, 0, 1, vcc_lo
	v_cmp_gt_i32_e32 vcc_lo, 1, v7
	v_or_b32_e32 v6, v13, v6
	v_cndmask_b32_e32 v8, v10, v8, vcc_lo
	v_cmp_gt_i32_e32 vcc_lo, 1, v9
	v_and_b32_e32 v10, 7, v8
	v_cndmask_b32_e32 v6, v11, v6, vcc_lo
	v_cmp_ne_u32_e32 vcc_lo, 0, v2
	v_lshrrev_b32_e32 v8, 2, v8
	v_cmp_eq_u32_e64 s0, 3, v10
	v_and_b32_e32 v11, 7, v6
	v_cndmask_b32_e64 v2, 0, 1, vcc_lo
	v_cmp_ne_u32_e32 vcc_lo, 0, v4
	v_lshrrev_b32_e32 v6, 2, v6
	v_cmp_lt_i32_e64 s1, 5, v11
	v_cmp_eq_u32_e64 s2, 3, v11
	v_cndmask_b32_e64 v4, 0, 1, vcc_lo
	v_cmp_lt_i32_e32 vcc_lo, 5, v10
	v_lshl_or_b32 v2, v2, 9, 0x7c00
	v_lshl_or_b32 v4, v4, 9, 0x7c00
	s_or_b32 vcc_lo, s0, vcc_lo
	v_add_co_ci_u32_e32 v8, vcc_lo, 0, v8, vcc_lo
	s_or_b32 vcc_lo, s2, s1
	v_add_co_ci_u32_e32 v6, vcc_lo, 0, v6, vcc_lo
	v_cmp_gt_i32_e32 vcc_lo, 31, v7
	v_cndmask_b32_e32 v8, 0x7c00, v8, vcc_lo
	v_cmp_gt_i32_e32 vcc_lo, 31, v9
	v_cndmask_b32_e32 v6, 0x7c00, v6, vcc_lo
	v_cmp_eq_u32_e32 vcc_lo, 0x40f, v7
	v_cndmask_b32_e32 v2, v8, v2, vcc_lo
	v_cmp_eq_u32_e32 vcc_lo, 0x40f, v9
	v_and_or_b32 v2, 0x8000, v3, v2
	v_cndmask_b32_e32 v4, v6, v4, vcc_lo
	v_add_co_u32 v0, vcc_lo, v0, s6
	v_add_co_ci_u32_e32 v1, vcc_lo, s7, v1, vcc_lo
	v_and_or_b32 v3, 0x8000, v5, v4
	v_and_b32_e32 v2, 0xffff, v2
	v_lshl_or_b32 v2, v3, 16, v2
	global_store_dword v[0:1], v2, off
	global_load_dword v4, v[72:73], off offset:1808
	v_add_nc_u32_e32 v2, 0x1700, v119
	ds_read2_b32 v[2:3], v2 offset0:4 offset1:220
	s_waitcnt lgkmcnt(0)
	v_lshrrev_b32_e32 v5, 16, v2
	s_waitcnt vmcnt(0)
	v_mul_f16_sdwa v6, v5, v4 dst_sel:DWORD dst_unused:UNUSED_PAD src0_sel:DWORD src1_sel:WORD_1
	v_mul_f16_sdwa v7, v2, v4 dst_sel:DWORD dst_unused:UNUSED_PAD src0_sel:DWORD src1_sel:WORD_1
	v_fmac_f16_e32 v6, v2, v4
	v_fma_f16 v2, v4, v5, -v7
	v_cvt_f32_f16_e32 v4, v6
	v_cvt_f32_f16_e32 v2, v2
	v_cvt_f64_f32_e32 v[4:5], v4
	v_cvt_f64_f32_e32 v[6:7], v2
	v_mul_f64 v[4:5], v[4:5], s[4:5]
	v_mul_f64 v[6:7], v[6:7], s[4:5]
	v_and_or_b32 v2, 0x1ff, v5, v4
	v_and_or_b32 v6, 0x1ff, v7, v6
	v_lshrrev_b32_e32 v4, 8, v5
	v_bfe_u32 v8, v5, 20, 11
	v_lshrrev_b32_e32 v9, 8, v7
	v_cmp_ne_u32_e32 vcc_lo, 0, v2
	v_bfe_u32 v10, v7, 20, 11
	v_lshrrev_b32_e32 v5, 16, v5
	v_sub_nc_u32_e32 v11, 0x3f1, v8
	v_add_nc_u32_e32 v8, 0xfffffc10, v8
	v_cndmask_b32_e64 v2, 0, 1, vcc_lo
	v_cmp_ne_u32_e32 vcc_lo, 0, v6
	v_lshrrev_b32_e32 v7, 16, v7
	v_and_or_b32 v2, 0xffe, v4, v2
	v_cndmask_b32_e64 v6, 0, 1, vcc_lo
	v_sub_nc_u32_e32 v4, 0x3f1, v10
	v_add_nc_u32_e32 v10, 0xfffffc10, v10
	v_and_or_b32 v6, 0xffe, v9, v6
	v_med3_i32 v9, v11, 0, 13
	v_or_b32_e32 v11, 0x1000, v2
	v_med3_i32 v4, v4, 0, 13
	v_or_b32_e32 v12, 0x1000, v6
	v_lshrrev_b32_e32 v13, v9, v11
	v_lshrrev_b32_e32 v14, v4, v12
	v_lshlrev_b32_e32 v9, v9, v13
	v_lshlrev_b32_e32 v4, v4, v14
	v_cmp_ne_u32_e32 vcc_lo, v9, v11
	v_lshl_or_b32 v11, v8, 12, v2
	v_cndmask_b32_e64 v9, 0, 1, vcc_lo
	v_cmp_ne_u32_e32 vcc_lo, v4, v12
	v_lshl_or_b32 v12, v10, 12, v6
	v_or_b32_e32 v9, v13, v9
	v_cndmask_b32_e64 v4, 0, 1, vcc_lo
	v_cmp_gt_i32_e32 vcc_lo, 1, v8
	v_or_b32_e32 v4, v14, v4
	v_cndmask_b32_e32 v9, v11, v9, vcc_lo
	v_cmp_gt_i32_e32 vcc_lo, 1, v10
	v_and_b32_e32 v11, 7, v9
	v_cndmask_b32_e32 v4, v12, v4, vcc_lo
	v_cmp_ne_u32_e32 vcc_lo, 0, v2
	v_lshrrev_b32_e32 v9, 2, v9
	v_cmp_eq_u32_e64 s0, 3, v11
	v_and_b32_e32 v12, 7, v4
	v_cndmask_b32_e64 v2, 0, 1, vcc_lo
	v_cmp_ne_u32_e32 vcc_lo, 0, v6
	v_lshrrev_b32_e32 v4, 2, v4
	v_cmp_lt_i32_e64 s1, 5, v12
	v_cmp_eq_u32_e64 s2, 3, v12
	v_cndmask_b32_e64 v6, 0, 1, vcc_lo
	v_cmp_lt_i32_e32 vcc_lo, 5, v11
	v_lshl_or_b32 v2, v2, 9, 0x7c00
	v_lshl_or_b32 v6, v6, 9, 0x7c00
	s_or_b32 vcc_lo, s0, vcc_lo
	v_add_co_ci_u32_e32 v9, vcc_lo, 0, v9, vcc_lo
	s_or_b32 vcc_lo, s2, s1
	v_add_co_ci_u32_e32 v4, vcc_lo, 0, v4, vcc_lo
	v_cmp_gt_i32_e32 vcc_lo, 31, v8
	v_cndmask_b32_e32 v9, 0x7c00, v9, vcc_lo
	v_cmp_gt_i32_e32 vcc_lo, 31, v10
	v_cndmask_b32_e32 v4, 0x7c00, v4, vcc_lo
	v_cmp_eq_u32_e32 vcc_lo, 0x40f, v8
	v_cndmask_b32_e32 v2, v9, v2, vcc_lo
	v_cmp_eq_u32_e32 vcc_lo, 0x40f, v10
	v_and_or_b32 v2, 0x8000, v5, v2
	v_cndmask_b32_e32 v4, v4, v6, vcc_lo
	v_add_co_u32 v0, vcc_lo, v0, s6
	v_add_co_ci_u32_e32 v1, vcc_lo, s7, v1, vcc_lo
	v_and_or_b32 v4, 0x8000, v7, v4
	v_and_b32_e32 v2, 0xffff, v2
	v_lshl_or_b32 v2, v4, 16, v2
	v_lshrrev_b32_e32 v4, 16, v3
	global_store_dword v[0:1], v2, off
	global_load_dword v2, v[68:69], off offset:624
	s_waitcnt vmcnt(0)
	v_mul_f16_sdwa v5, v4, v2 dst_sel:DWORD dst_unused:UNUSED_PAD src0_sel:DWORD src1_sel:WORD_1
	v_mul_f16_sdwa v6, v3, v2 dst_sel:DWORD dst_unused:UNUSED_PAD src0_sel:DWORD src1_sel:WORD_1
	v_fmac_f16_e32 v5, v3, v2
	v_fma_f16 v2, v2, v4, -v6
	v_cvt_f32_f16_e32 v3, v5
	v_cvt_f32_f16_e32 v4, v2
	v_cvt_f64_f32_e32 v[2:3], v3
	v_cvt_f64_f32_e32 v[4:5], v4
	v_mul_f64 v[2:3], v[2:3], s[4:5]
	v_mul_f64 v[4:5], v[4:5], s[4:5]
	v_and_or_b32 v2, 0x1ff, v3, v2
	v_and_or_b32 v4, 0x1ff, v5, v4
	v_lshrrev_b32_e32 v6, 8, v3
	v_bfe_u32 v7, v3, 20, 11
	v_lshrrev_b32_e32 v8, 8, v5
	v_cmp_ne_u32_e32 vcc_lo, 0, v2
	v_bfe_u32 v9, v5, 20, 11
	v_lshrrev_b32_e32 v3, 16, v3
	v_sub_nc_u32_e32 v10, 0x3f1, v7
	v_add_nc_u32_e32 v7, 0xfffffc10, v7
	v_cndmask_b32_e64 v2, 0, 1, vcc_lo
	v_cmp_ne_u32_e32 vcc_lo, 0, v4
	v_lshrrev_b32_e32 v5, 16, v5
	v_and_or_b32 v2, 0xffe, v6, v2
	v_cndmask_b32_e64 v4, 0, 1, vcc_lo
	v_sub_nc_u32_e32 v6, 0x3f1, v9
	v_add_nc_u32_e32 v9, 0xfffffc10, v9
	v_and_or_b32 v4, 0xffe, v8, v4
	v_med3_i32 v8, v10, 0, 13
	v_or_b32_e32 v10, 0x1000, v2
	v_med3_i32 v6, v6, 0, 13
	v_or_b32_e32 v11, 0x1000, v4
	v_lshrrev_b32_e32 v12, v8, v10
	v_lshrrev_b32_e32 v13, v6, v11
	v_lshlrev_b32_e32 v8, v8, v12
	v_lshlrev_b32_e32 v6, v6, v13
	v_cmp_ne_u32_e32 vcc_lo, v8, v10
	v_lshl_or_b32 v10, v7, 12, v2
	v_cndmask_b32_e64 v8, 0, 1, vcc_lo
	v_cmp_ne_u32_e32 vcc_lo, v6, v11
	v_lshl_or_b32 v11, v9, 12, v4
	v_or_b32_e32 v8, v12, v8
	v_cndmask_b32_e64 v6, 0, 1, vcc_lo
	v_cmp_gt_i32_e32 vcc_lo, 1, v7
	v_or_b32_e32 v6, v13, v6
	v_cndmask_b32_e32 v8, v10, v8, vcc_lo
	v_cmp_gt_i32_e32 vcc_lo, 1, v9
	v_and_b32_e32 v10, 7, v8
	v_cndmask_b32_e32 v6, v11, v6, vcc_lo
	v_cmp_ne_u32_e32 vcc_lo, 0, v2
	v_lshrrev_b32_e32 v8, 2, v8
	v_cmp_eq_u32_e64 s0, 3, v10
	v_and_b32_e32 v11, 7, v6
	v_cndmask_b32_e64 v2, 0, 1, vcc_lo
	v_cmp_ne_u32_e32 vcc_lo, 0, v4
	v_lshrrev_b32_e32 v6, 2, v6
	v_cmp_lt_i32_e64 s1, 5, v11
	v_cmp_eq_u32_e64 s2, 3, v11
	v_cndmask_b32_e64 v4, 0, 1, vcc_lo
	v_cmp_lt_i32_e32 vcc_lo, 5, v10
	v_lshl_or_b32 v2, v2, 9, 0x7c00
	v_lshl_or_b32 v4, v4, 9, 0x7c00
	s_or_b32 vcc_lo, s0, vcc_lo
	v_add_co_ci_u32_e32 v8, vcc_lo, 0, v8, vcc_lo
	s_or_b32 vcc_lo, s2, s1
	v_add_co_ci_u32_e32 v6, vcc_lo, 0, v6, vcc_lo
	v_cmp_gt_i32_e32 vcc_lo, 31, v7
	v_cndmask_b32_e32 v8, 0x7c00, v8, vcc_lo
	v_cmp_gt_i32_e32 vcc_lo, 31, v9
	v_cndmask_b32_e32 v6, 0x7c00, v6, vcc_lo
	v_cmp_eq_u32_e32 vcc_lo, 0x40f, v7
	v_cndmask_b32_e32 v2, v8, v2, vcc_lo
	v_cmp_eq_u32_e32 vcc_lo, 0x40f, v9
	v_and_or_b32 v2, 0x8000, v3, v2
	v_cndmask_b32_e32 v4, v6, v4, vcc_lo
	v_add_co_u32 v0, vcc_lo, v0, s6
	v_add_co_ci_u32_e32 v1, vcc_lo, s7, v1, vcc_lo
	v_and_or_b32 v3, 0x8000, v5, v4
	v_and_b32_e32 v2, 0xffff, v2
	v_lshl_or_b32 v2, v3, 16, v2
	global_store_dword v[0:1], v2, off
	global_load_dword v4, v[68:69], off offset:1488
	v_add_nc_u32_e32 v2, 0x1d80, v119
	ds_read2_b32 v[2:3], v2 offset0:20 offset1:236
	s_waitcnt lgkmcnt(0)
	v_lshrrev_b32_e32 v5, 16, v2
	s_waitcnt vmcnt(0)
	v_mul_f16_sdwa v6, v5, v4 dst_sel:DWORD dst_unused:UNUSED_PAD src0_sel:DWORD src1_sel:WORD_1
	v_mul_f16_sdwa v7, v2, v4 dst_sel:DWORD dst_unused:UNUSED_PAD src0_sel:DWORD src1_sel:WORD_1
	v_fmac_f16_e32 v6, v2, v4
	v_fma_f16 v2, v4, v5, -v7
	v_cvt_f32_f16_e32 v4, v6
	v_cvt_f32_f16_e32 v2, v2
	v_cvt_f64_f32_e32 v[4:5], v4
	v_cvt_f64_f32_e32 v[6:7], v2
	v_mul_f64 v[4:5], v[4:5], s[4:5]
	v_mul_f64 v[6:7], v[6:7], s[4:5]
	v_and_or_b32 v2, 0x1ff, v5, v4
	v_and_or_b32 v6, 0x1ff, v7, v6
	v_lshrrev_b32_e32 v4, 8, v5
	v_bfe_u32 v8, v5, 20, 11
	v_lshrrev_b32_e32 v9, 8, v7
	v_cmp_ne_u32_e32 vcc_lo, 0, v2
	v_bfe_u32 v10, v7, 20, 11
	v_lshrrev_b32_e32 v5, 16, v5
	v_sub_nc_u32_e32 v11, 0x3f1, v8
	v_add_nc_u32_e32 v8, 0xfffffc10, v8
	v_cndmask_b32_e64 v2, 0, 1, vcc_lo
	v_cmp_ne_u32_e32 vcc_lo, 0, v6
	v_lshrrev_b32_e32 v7, 16, v7
	v_and_or_b32 v2, 0xffe, v4, v2
	v_cndmask_b32_e64 v6, 0, 1, vcc_lo
	v_sub_nc_u32_e32 v4, 0x3f1, v10
	v_add_nc_u32_e32 v10, 0xfffffc10, v10
	v_and_or_b32 v6, 0xffe, v9, v6
	v_med3_i32 v9, v11, 0, 13
	v_or_b32_e32 v11, 0x1000, v2
	v_med3_i32 v4, v4, 0, 13
	v_or_b32_e32 v12, 0x1000, v6
	v_lshrrev_b32_e32 v13, v9, v11
	v_lshrrev_b32_e32 v14, v4, v12
	v_lshlrev_b32_e32 v9, v9, v13
	v_lshlrev_b32_e32 v4, v4, v14
	v_cmp_ne_u32_e32 vcc_lo, v9, v11
	v_lshl_or_b32 v11, v8, 12, v2
	v_cndmask_b32_e64 v9, 0, 1, vcc_lo
	v_cmp_ne_u32_e32 vcc_lo, v4, v12
	v_lshl_or_b32 v12, v10, 12, v6
	v_or_b32_e32 v9, v13, v9
	v_cndmask_b32_e64 v4, 0, 1, vcc_lo
	v_cmp_gt_i32_e32 vcc_lo, 1, v8
	v_or_b32_e32 v4, v14, v4
	v_cndmask_b32_e32 v9, v11, v9, vcc_lo
	v_cmp_gt_i32_e32 vcc_lo, 1, v10
	v_and_b32_e32 v11, 7, v9
	v_cndmask_b32_e32 v4, v12, v4, vcc_lo
	v_cmp_ne_u32_e32 vcc_lo, 0, v2
	v_lshrrev_b32_e32 v9, 2, v9
	v_cmp_eq_u32_e64 s0, 3, v11
	v_and_b32_e32 v12, 7, v4
	v_cndmask_b32_e64 v2, 0, 1, vcc_lo
	v_cmp_ne_u32_e32 vcc_lo, 0, v6
	v_lshrrev_b32_e32 v4, 2, v4
	v_cmp_lt_i32_e64 s1, 5, v12
	v_cmp_eq_u32_e64 s2, 3, v12
	v_cndmask_b32_e64 v6, 0, 1, vcc_lo
	v_cmp_lt_i32_e32 vcc_lo, 5, v11
	v_lshl_or_b32 v2, v2, 9, 0x7c00
	v_lshl_or_b32 v6, v6, 9, 0x7c00
	s_or_b32 vcc_lo, s0, vcc_lo
	v_add_co_ci_u32_e32 v9, vcc_lo, 0, v9, vcc_lo
	s_or_b32 vcc_lo, s2, s1
	v_add_co_ci_u32_e32 v4, vcc_lo, 0, v4, vcc_lo
	v_cmp_gt_i32_e32 vcc_lo, 31, v8
	v_cndmask_b32_e32 v9, 0x7c00, v9, vcc_lo
	v_cmp_gt_i32_e32 vcc_lo, 31, v10
	v_cndmask_b32_e32 v4, 0x7c00, v4, vcc_lo
	v_cmp_eq_u32_e32 vcc_lo, 0x40f, v8
	v_cndmask_b32_e32 v2, v9, v2, vcc_lo
	v_cmp_eq_u32_e32 vcc_lo, 0x40f, v10
	v_and_or_b32 v2, 0x8000, v5, v2
	v_cndmask_b32_e32 v4, v4, v6, vcc_lo
	v_add_co_u32 v0, vcc_lo, v0, s6
	v_add_co_ci_u32_e32 v1, vcc_lo, s7, v1, vcc_lo
	v_and_or_b32 v4, 0x8000, v7, v4
	v_and_b32_e32 v2, 0xffff, v2
	v_lshl_or_b32 v2, v4, 16, v2
	v_lshrrev_b32_e32 v4, 16, v3
	global_store_dword v[0:1], v2, off
	global_load_dword v2, v[70:71], off offset:304
	s_waitcnt vmcnt(0)
	v_mul_f16_sdwa v5, v4, v2 dst_sel:DWORD dst_unused:UNUSED_PAD src0_sel:DWORD src1_sel:WORD_1
	v_mul_f16_sdwa v6, v3, v2 dst_sel:DWORD dst_unused:UNUSED_PAD src0_sel:DWORD src1_sel:WORD_1
	v_fmac_f16_e32 v5, v3, v2
	v_fma_f16 v2, v2, v4, -v6
	v_cvt_f32_f16_e32 v3, v5
	v_cvt_f32_f16_e32 v4, v2
	v_cvt_f64_f32_e32 v[2:3], v3
	v_cvt_f64_f32_e32 v[4:5], v4
	v_mul_f64 v[2:3], v[2:3], s[4:5]
	v_mul_f64 v[4:5], v[4:5], s[4:5]
	v_and_or_b32 v2, 0x1ff, v3, v2
	v_and_or_b32 v4, 0x1ff, v5, v4
	v_lshrrev_b32_e32 v6, 8, v3
	v_bfe_u32 v7, v3, 20, 11
	v_lshrrev_b32_e32 v8, 8, v5
	v_cmp_ne_u32_e32 vcc_lo, 0, v2
	v_bfe_u32 v9, v5, 20, 11
	v_lshrrev_b32_e32 v3, 16, v3
	v_sub_nc_u32_e32 v10, 0x3f1, v7
	v_add_nc_u32_e32 v7, 0xfffffc10, v7
	v_cndmask_b32_e64 v2, 0, 1, vcc_lo
	v_cmp_ne_u32_e32 vcc_lo, 0, v4
	v_lshrrev_b32_e32 v5, 16, v5
	v_and_or_b32 v2, 0xffe, v6, v2
	v_cndmask_b32_e64 v4, 0, 1, vcc_lo
	v_sub_nc_u32_e32 v6, 0x3f1, v9
	v_add_nc_u32_e32 v9, 0xfffffc10, v9
	v_and_or_b32 v4, 0xffe, v8, v4
	v_med3_i32 v8, v10, 0, 13
	v_or_b32_e32 v10, 0x1000, v2
	v_med3_i32 v6, v6, 0, 13
	v_or_b32_e32 v11, 0x1000, v4
	v_lshrrev_b32_e32 v12, v8, v10
	v_lshrrev_b32_e32 v13, v6, v11
	v_lshlrev_b32_e32 v8, v8, v12
	v_lshlrev_b32_e32 v6, v6, v13
	v_cmp_ne_u32_e32 vcc_lo, v8, v10
	v_lshl_or_b32 v10, v7, 12, v2
	v_cndmask_b32_e64 v8, 0, 1, vcc_lo
	v_cmp_ne_u32_e32 vcc_lo, v6, v11
	v_lshl_or_b32 v11, v9, 12, v4
	v_or_b32_e32 v8, v12, v8
	v_cndmask_b32_e64 v6, 0, 1, vcc_lo
	v_cmp_gt_i32_e32 vcc_lo, 1, v7
	v_or_b32_e32 v6, v13, v6
	v_cndmask_b32_e32 v8, v10, v8, vcc_lo
	v_cmp_gt_i32_e32 vcc_lo, 1, v9
	v_and_b32_e32 v10, 7, v8
	v_cndmask_b32_e32 v6, v11, v6, vcc_lo
	v_cmp_ne_u32_e32 vcc_lo, 0, v2
	v_lshrrev_b32_e32 v8, 2, v8
	v_cmp_eq_u32_e64 s0, 3, v10
	v_and_b32_e32 v11, 7, v6
	v_cndmask_b32_e64 v2, 0, 1, vcc_lo
	v_cmp_ne_u32_e32 vcc_lo, 0, v4
	v_lshrrev_b32_e32 v6, 2, v6
	v_cmp_lt_i32_e64 s1, 5, v11
	v_cmp_eq_u32_e64 s2, 3, v11
	v_cndmask_b32_e64 v4, 0, 1, vcc_lo
	v_cmp_lt_i32_e32 vcc_lo, 5, v10
	v_lshl_or_b32 v2, v2, 9, 0x7c00
	v_lshl_or_b32 v4, v4, 9, 0x7c00
	s_or_b32 vcc_lo, s0, vcc_lo
	v_add_co_ci_u32_e32 v8, vcc_lo, 0, v8, vcc_lo
	s_or_b32 vcc_lo, s2, s1
	v_add_co_ci_u32_e32 v6, vcc_lo, 0, v6, vcc_lo
	v_cmp_gt_i32_e32 vcc_lo, 31, v7
	v_cndmask_b32_e32 v8, 0x7c00, v8, vcc_lo
	v_cmp_gt_i32_e32 vcc_lo, 31, v9
	v_cndmask_b32_e32 v6, 0x7c00, v6, vcc_lo
	v_cmp_eq_u32_e32 vcc_lo, 0x40f, v7
	v_cndmask_b32_e32 v2, v8, v2, vcc_lo
	v_cmp_eq_u32_e32 vcc_lo, 0x40f, v9
	v_and_or_b32 v2, 0x8000, v3, v2
	v_cndmask_b32_e32 v4, v6, v4, vcc_lo
	v_add_co_u32 v0, vcc_lo, v0, s6
	v_add_co_ci_u32_e32 v1, vcc_lo, s7, v1, vcc_lo
	v_and_or_b32 v3, 0x8000, v5, v4
	v_and_b32_e32 v2, 0xffff, v2
	v_lshl_or_b32 v2, v3, 16, v2
	global_store_dword v[0:1], v2, off
.LBB0_15:
	s_endpgm
	.section	.rodata,"a",@progbits
	.p2align	6, 0x0
	.amdhsa_kernel bluestein_single_back_len2160_dim1_half_op_CI_CI
		.amdhsa_group_segment_fixed_size 8640
		.amdhsa_private_segment_fixed_size 0
		.amdhsa_kernarg_size 104
		.amdhsa_user_sgpr_count 6
		.amdhsa_user_sgpr_private_segment_buffer 1
		.amdhsa_user_sgpr_dispatch_ptr 0
		.amdhsa_user_sgpr_queue_ptr 0
		.amdhsa_user_sgpr_kernarg_segment_ptr 1
		.amdhsa_user_sgpr_dispatch_id 0
		.amdhsa_user_sgpr_flat_scratch_init 0
		.amdhsa_user_sgpr_private_segment_size 0
		.amdhsa_wavefront_size32 1
		.amdhsa_uses_dynamic_stack 0
		.amdhsa_system_sgpr_private_segment_wavefront_offset 0
		.amdhsa_system_sgpr_workgroup_id_x 1
		.amdhsa_system_sgpr_workgroup_id_y 0
		.amdhsa_system_sgpr_workgroup_id_z 0
		.amdhsa_system_sgpr_workgroup_info 0
		.amdhsa_system_vgpr_workitem_id 0
		.amdhsa_next_free_vgpr 252
		.amdhsa_next_free_sgpr 18
		.amdhsa_reserve_vcc 1
		.amdhsa_reserve_flat_scratch 0
		.amdhsa_float_round_mode_32 0
		.amdhsa_float_round_mode_16_64 0
		.amdhsa_float_denorm_mode_32 3
		.amdhsa_float_denorm_mode_16_64 3
		.amdhsa_dx10_clamp 1
		.amdhsa_ieee_mode 1
		.amdhsa_fp16_overflow 0
		.amdhsa_workgroup_processor_mode 1
		.amdhsa_memory_ordered 1
		.amdhsa_forward_progress 0
		.amdhsa_shared_vgpr_count 0
		.amdhsa_exception_fp_ieee_invalid_op 0
		.amdhsa_exception_fp_denorm_src 0
		.amdhsa_exception_fp_ieee_div_zero 0
		.amdhsa_exception_fp_ieee_overflow 0
		.amdhsa_exception_fp_ieee_underflow 0
		.amdhsa_exception_fp_ieee_inexact 0
		.amdhsa_exception_int_div_zero 0
	.end_amdhsa_kernel
	.text
.Lfunc_end0:
	.size	bluestein_single_back_len2160_dim1_half_op_CI_CI, .Lfunc_end0-bluestein_single_back_len2160_dim1_half_op_CI_CI
                                        ; -- End function
	.section	.AMDGPU.csdata,"",@progbits
; Kernel info:
; codeLenInByte = 59948
; NumSgprs: 20
; NumVgprs: 252
; ScratchSize: 0
; MemoryBound: 0
; FloatMode: 240
; IeeeMode: 1
; LDSByteSize: 8640 bytes/workgroup (compile time only)
; SGPRBlocks: 2
; VGPRBlocks: 31
; NumSGPRsForWavesPerEU: 20
; NumVGPRsForWavesPerEU: 252
; Occupancy: 4
; WaveLimiterHint : 1
; COMPUTE_PGM_RSRC2:SCRATCH_EN: 0
; COMPUTE_PGM_RSRC2:USER_SGPR: 6
; COMPUTE_PGM_RSRC2:TRAP_HANDLER: 0
; COMPUTE_PGM_RSRC2:TGID_X_EN: 1
; COMPUTE_PGM_RSRC2:TGID_Y_EN: 0
; COMPUTE_PGM_RSRC2:TGID_Z_EN: 0
; COMPUTE_PGM_RSRC2:TIDIG_COMP_CNT: 0
	.text
	.p2alignl 6, 3214868480
	.fill 48, 4, 3214868480
	.type	__hip_cuid_612509f0cf30a8e8,@object ; @__hip_cuid_612509f0cf30a8e8
	.section	.bss,"aw",@nobits
	.globl	__hip_cuid_612509f0cf30a8e8
__hip_cuid_612509f0cf30a8e8:
	.byte	0                               ; 0x0
	.size	__hip_cuid_612509f0cf30a8e8, 1

	.ident	"AMD clang version 19.0.0git (https://github.com/RadeonOpenCompute/llvm-project roc-6.4.0 25133 c7fe45cf4b819c5991fe208aaa96edf142730f1d)"
	.section	".note.GNU-stack","",@progbits
	.addrsig
	.addrsig_sym __hip_cuid_612509f0cf30a8e8
	.amdgpu_metadata
---
amdhsa.kernels:
  - .args:
      - .actual_access:  read_only
        .address_space:  global
        .offset:         0
        .size:           8
        .value_kind:     global_buffer
      - .actual_access:  read_only
        .address_space:  global
        .offset:         8
        .size:           8
        .value_kind:     global_buffer
      - .actual_access:  read_only
        .address_space:  global
        .offset:         16
        .size:           8
        .value_kind:     global_buffer
      - .actual_access:  read_only
        .address_space:  global
        .offset:         24
        .size:           8
        .value_kind:     global_buffer
      - .actual_access:  read_only
        .address_space:  global
        .offset:         32
        .size:           8
        .value_kind:     global_buffer
      - .offset:         40
        .size:           8
        .value_kind:     by_value
      - .address_space:  global
        .offset:         48
        .size:           8
        .value_kind:     global_buffer
      - .address_space:  global
        .offset:         56
        .size:           8
        .value_kind:     global_buffer
      - .address_space:  global
        .offset:         64
        .size:           8
        .value_kind:     global_buffer
      - .address_space:  global
        .offset:         72
        .size:           8
        .value_kind:     global_buffer
      - .offset:         80
        .size:           4
        .value_kind:     by_value
      - .address_space:  global
        .offset:         88
        .size:           8
        .value_kind:     global_buffer
      - .address_space:  global
        .offset:         96
        .size:           8
        .value_kind:     global_buffer
    .group_segment_fixed_size: 8640
    .kernarg_segment_align: 8
    .kernarg_segment_size: 104
    .language:       OpenCL C
    .language_version:
      - 2
      - 0
    .max_flat_workgroup_size: 60
    .name:           bluestein_single_back_len2160_dim1_half_op_CI_CI
    .private_segment_fixed_size: 0
    .sgpr_count:     20
    .sgpr_spill_count: 0
    .symbol:         bluestein_single_back_len2160_dim1_half_op_CI_CI.kd
    .uniform_work_group_size: 1
    .uses_dynamic_stack: false
    .vgpr_count:     252
    .vgpr_spill_count: 0
    .wavefront_size: 32
    .workgroup_processor_mode: 1
amdhsa.target:   amdgcn-amd-amdhsa--gfx1030
amdhsa.version:
  - 1
  - 2
...

	.end_amdgpu_metadata
